;; amdgpu-corpus repo=ROCm/rocFFT kind=compiled arch=gfx950 opt=O3
	.text
	.amdgcn_target "amdgcn-amd-amdhsa--gfx950"
	.amdhsa_code_object_version 6
	.protected	bluestein_single_fwd_len918_dim1_sp_op_CI_CI ; -- Begin function bluestein_single_fwd_len918_dim1_sp_op_CI_CI
	.globl	bluestein_single_fwd_len918_dim1_sp_op_CI_CI
	.p2align	8
	.type	bluestein_single_fwd_len918_dim1_sp_op_CI_CI,@function
bluestein_single_fwd_len918_dim1_sp_op_CI_CI: ; @bluestein_single_fwd_len918_dim1_sp_op_CI_CI
; %bb.0:
	s_load_dwordx4 s[4:7], s[0:1], 0x28
	v_mul_u32_u24_e32 v1, 0x283, v0
	v_mov_b32_e32 v75, 0
	v_add_u32_sdwa v2, s2, v1 dst_sel:DWORD dst_unused:UNUSED_PAD src0_sel:DWORD src1_sel:WORD_1
	v_mov_b32_e32 v3, v75
	v_accvgpr_write_b32 a2, v2
	s_waitcnt lgkmcnt(0)
	v_cmp_gt_u64_e32 vcc, s[4:5], v[2:3]
	s_and_saveexec_b64 s[2:3], vcc
	s_cbranch_execz .LBB0_23
; %bb.1:
	s_load_dwordx2 s[12:13], s[0:1], 0x0
	s_load_dwordx2 s[14:15], s[0:1], 0x38
	s_movk_i32 s2, 0x66
	v_mul_lo_u16_sdwa v1, v1, s2 dst_sel:DWORD dst_unused:UNUSED_PAD src0_sel:WORD_1 src1_sel:DWORD
	v_sub_u16_e32 v74, v0, v1
	v_cmp_gt_u16_e64 s[4:5], 54, v74
	v_lshlrev_b32_e32 v60, 3, v74
	s_and_saveexec_b64 s[2:3], s[4:5]
	s_cbranch_execz .LBB0_3
; %bb.2:
	s_load_dwordx2 s[8:9], s[0:1], 0x18
	v_accvgpr_read_b32 v10, a2
	v_mov_b32_e32 v0, s6
	v_mov_b32_e32 v1, s7
	;; [unrolled: 1-line block ×3, first 2 shown]
	s_waitcnt lgkmcnt(0)
	s_load_dwordx4 s[8:11], s[8:9], 0x0
	v_mov_b32_e32 v61, 0
	s_waitcnt lgkmcnt(0)
	v_mad_u64_u32 v[2:3], s[6:7], s10, v10, 0
	v_mad_u64_u32 v[4:5], s[6:7], s8, v74, 0
	v_mov_b32_e32 v6, v3
	v_mov_b32_e32 v8, v5
	v_mad_u64_u32 v[6:7], s[6:7], s11, v10, v[6:7]
	v_mov_b32_e32 v3, v6
	v_mad_u64_u32 v[6:7], s[6:7], s9, v74, v[8:9]
	v_mov_b32_e32 v5, v6
	v_lshl_add_u64 v[0:1], v[2:3], 3, v[0:1]
	v_lshl_add_u64 v[4:5], v[4:5], 3, v[0:1]
	v_mad_u64_u32 v[6:7], s[6:7], s8, v72, v[4:5]
	s_mul_i32 s6, s9, 0x1b0
	s_nop 0
	v_add_u32_e32 v7, s6, v7
	v_mad_u64_u32 v[16:17], s[10:11], s8, v72, v[6:7]
	v_add_u32_e32 v17, s6, v17
	v_mad_u64_u32 v[18:19], s[10:11], s8, v72, v[16:17]
	v_add_u32_e32 v19, s6, v19
	global_load_dwordx2 v[0:1], v[4:5], off
	global_load_dwordx2 v[2:3], v60, s[12:13]
	s_movk_i32 s7, 0x1000
	global_load_dwordx2 v[4:5], v[6:7], off
	global_load_dwordx2 v[10:11], v60, s[12:13] offset:432
	global_load_dwordx2 v[8:9], v60, s[12:13] offset:864
	s_nop 0
	global_load_dwordx2 v[6:7], v60, s[12:13] offset:1296
	global_load_dwordx2 v[12:13], v60, s[12:13] offset:1728
	;; [unrolled: 1-line block ×7, first 2 shown]
	global_load_dwordx2 v[28:29], v[16:17], off
	global_load_dwordx2 v[30:31], v[18:19], off
	v_mad_u64_u32 v[18:19], s[10:11], s8, v72, v[18:19]
	v_add_u32_e32 v19, s6, v19
	global_load_dwordx2 v[32:33], v[18:19], off
	v_mad_u64_u32 v[18:19], s[10:11], s8, v72, v[18:19]
	v_add_u32_e32 v19, s6, v19
	global_load_dwordx2 v[34:35], v[18:19], off
	v_mad_u64_u32 v[18:19], s[10:11], s8, v72, v[18:19]
	v_add_u32_e32 v19, s6, v19
	global_load_dwordx2 v[36:37], v[18:19], off
	v_mad_u64_u32 v[18:19], s[10:11], s8, v72, v[18:19]
	v_add_u32_e32 v19, s6, v19
	global_load_dwordx2 v[38:39], v[18:19], off
	v_mad_u64_u32 v[18:19], s[10:11], s8, v72, v[18:19]
	v_add_u32_e32 v19, s6, v19
	global_load_dwordx2 v[40:41], v[18:19], off
	v_mad_u64_u32 v[18:19], s[10:11], s8, v72, v[18:19]
	v_add_u32_e32 v19, s6, v19
	global_load_dwordx2 v[42:43], v[18:19], off
	v_mad_u64_u32 v[18:19], s[10:11], s8, v72, v[18:19]
	v_lshl_add_u64 v[16:17], s[12:13], 0, v[60:61]
	v_add_u32_e32 v19, s6, v19
	v_add_co_u32_e32 v16, vcc, s7, v16
	global_load_dwordx2 v[44:45], v[18:19], off
	v_mad_u64_u32 v[18:19], s[10:11], s8, v72, v[18:19]
	v_addc_co_u32_e32 v17, vcc, 0, v17, vcc
	v_add_u32_e32 v19, s6, v19
	global_load_dwordx2 v[46:47], v[16:17], off offset:224
	global_load_dwordx2 v[48:49], v[18:19], off
	global_load_dwordx2 v[50:51], v[16:17], off offset:656
	v_mad_u64_u32 v[18:19], s[10:11], s8, v72, v[18:19]
	v_add_u32_e32 v19, s6, v19
	global_load_dwordx2 v[52:53], v[18:19], off
	v_mad_u64_u32 v[18:19], s[10:11], s8, v72, v[18:19]
	v_add_u32_e32 v19, s6, v19
	global_load_dwordx2 v[54:55], v[16:17], off offset:1088
	global_load_dwordx2 v[56:57], v[18:19], off
	global_load_dwordx2 v[58:59], v[16:17], off offset:1520
	global_load_dwordx2 v[62:63], v[16:17], off offset:1952
	;; [unrolled: 1-line block ×3, first 2 shown]
	v_mad_u64_u32 v[18:19], s[10:11], s8, v72, v[18:19]
	v_add_u32_e32 v19, s6, v19
	global_load_dwordx2 v[66:67], v[18:19], off
	v_mad_u64_u32 v[18:19], s[10:11], s8, v72, v[18:19]
	v_add_u32_e32 v19, s6, v19
	global_load_dwordx2 v[68:69], v[18:19], off
	global_load_dwordx2 v[70:71], v[16:17], off offset:2816
	v_mad_u64_u32 v[16:17], s[8:9], s8, v72, v[18:19]
	v_add_u32_e32 v17, s6, v17
	global_load_dwordx2 v[16:17], v[16:17], off
	s_waitcnt vmcnt(32)
	v_mul_f32_e32 v18, v1, v3
	v_mul_f32_e32 v3, v0, v3
	v_fmac_f32_e32 v18, v0, v2
	v_fma_f32 v19, v1, v2, -v3
	s_waitcnt vmcnt(30)
	v_mul_f32_e32 v0, v5, v11
	v_mul_f32_e32 v1, v4, v11
	v_fmac_f32_e32 v0, v4, v10
	v_fma_f32 v1, v5, v10, -v1
	ds_write2_b64 v60, v[18:19], v[0:1] offset1:54
	s_waitcnt vmcnt(21)
	v_mul_f32_e32 v0, v29, v9
	v_mul_f32_e32 v1, v28, v9
	s_waitcnt vmcnt(20)
	v_mul_f32_e32 v2, v31, v7
	v_mul_f32_e32 v3, v30, v7
	v_fmac_f32_e32 v0, v28, v8
	v_fma_f32 v1, v29, v8, -v1
	v_fmac_f32_e32 v2, v30, v6
	v_fma_f32 v3, v31, v6, -v3
	ds_write2_b64 v60, v[0:1], v[2:3] offset0:108 offset1:162
	s_waitcnt vmcnt(19)
	v_mul_f32_e32 v0, v32, v13
	v_fma_f32 v1, v33, v12, -v0
	v_mul_f32_e32 v0, v33, v13
	s_waitcnt vmcnt(18)
	v_mul_f32_e32 v2, v35, v15
	v_mul_f32_e32 v3, v34, v15
	v_fmac_f32_e32 v0, v32, v12
	v_fmac_f32_e32 v2, v34, v14
	v_fma_f32 v3, v35, v14, -v3
	v_add_u32_e32 v4, 0x400, v60
	ds_write2_b64 v4, v[0:1], v[2:3] offset0:88 offset1:142
	s_waitcnt vmcnt(17)
	v_mul_f32_e32 v0, v37, v21
	v_mul_f32_e32 v1, v36, v21
	s_waitcnt vmcnt(16)
	v_mul_f32_e32 v2, v39, v23
	v_mul_f32_e32 v3, v38, v23
	v_fmac_f32_e32 v0, v36, v20
	v_fma_f32 v1, v37, v20, -v1
	v_fmac_f32_e32 v2, v38, v22
	v_fma_f32 v3, v39, v22, -v3
	v_add_u32_e32 v4, 0x800, v60
	ds_write2_b64 v4, v[0:1], v[2:3] offset0:68 offset1:122
	s_waitcnt vmcnt(15)
	v_mul_f32_e32 v0, v41, v25
	v_mul_f32_e32 v1, v40, v25
	s_waitcnt vmcnt(14)
	v_mul_f32_e32 v2, v43, v27
	v_mul_f32_e32 v3, v42, v27
	v_fmac_f32_e32 v0, v40, v24
	v_fma_f32 v1, v41, v24, -v1
	v_fmac_f32_e32 v2, v42, v26
	v_fma_f32 v3, v43, v26, -v3
	ds_write2_b64 v4, v[0:1], v[2:3] offset0:176 offset1:230
	s_waitcnt vmcnt(12)
	v_mul_f32_e32 v0, v45, v47
	v_mul_f32_e32 v1, v44, v47
	s_waitcnt vmcnt(10)
	v_mul_f32_e32 v2, v49, v51
	v_mul_f32_e32 v3, v48, v51
	v_fmac_f32_e32 v0, v44, v46
	v_fma_f32 v1, v45, v46, -v1
	v_fmac_f32_e32 v2, v48, v50
	v_fma_f32 v3, v49, v50, -v3
	v_add_u32_e32 v4, 0x1000, v60
	ds_write2_b64 v4, v[0:1], v[2:3] offset0:28 offset1:82
	s_waitcnt vmcnt(8)
	v_mul_f32_e32 v0, v53, v55
	v_mul_f32_e32 v1, v52, v55
	s_waitcnt vmcnt(6)
	v_mul_f32_e32 v2, v57, v59
	v_mul_f32_e32 v3, v56, v59
	v_fmac_f32_e32 v0, v52, v54
	v_fma_f32 v1, v53, v54, -v1
	v_fmac_f32_e32 v2, v56, v58
	v_fma_f32 v3, v57, v58, -v3
	ds_write2_b64 v4, v[0:1], v[2:3] offset0:136 offset1:190
	s_waitcnt vmcnt(3)
	v_mul_f32_e32 v0, v67, v63
	v_mul_f32_e32 v1, v66, v63
	s_waitcnt vmcnt(2)
	v_mul_f32_e32 v2, v69, v65
	v_mul_f32_e32 v3, v68, v65
	v_fmac_f32_e32 v0, v66, v62
	v_fma_f32 v1, v67, v62, -v1
	v_fmac_f32_e32 v2, v68, v64
	v_fma_f32 v3, v69, v64, -v3
	v_add_u32_e32 v4, 0x1400, v60
	ds_write2_b64 v4, v[0:1], v[2:3] offset0:116 offset1:170
	s_waitcnt vmcnt(0)
	v_mul_f32_e32 v0, v17, v71
	v_mul_f32_e32 v1, v16, v71
	v_fmac_f32_e32 v0, v16, v70
	v_fma_f32 v1, v17, v70, -v1
	ds_write_b64 v60, v[0:1] offset:6912
.LBB0_3:
	s_or_b64 exec, exec, s[2:3]
	s_load_dwordx2 s[2:3], s[0:1], 0x20
	s_load_dwordx2 s[6:7], s[0:1], 0x8
	v_accvgpr_write_b32 a0, v74
	v_accvgpr_write_b32 a1, v75
	v_mov_b32_e32 v0, 0
	v_mov_b32_e32 v1, 0
	s_waitcnt lgkmcnt(0)
	s_barrier
	s_waitcnt lgkmcnt(0)
                                        ; implicit-def: $vgpr6
                                        ; implicit-def: $vgpr12
                                        ; implicit-def: $vgpr10
                                        ; implicit-def: $vgpr24
                                        ; implicit-def: $vgpr22
                                        ; implicit-def: $vgpr30
                                        ; implicit-def: $vgpr40
                                        ; implicit-def: $vgpr16
	s_and_saveexec_b64 s[0:1], s[4:5]
	s_cbranch_execz .LBB0_5
; %bb.4:
	v_add_u32_e32 v4, 0x400, v60
	ds_read2_b64 v[0:3], v60 offset1:54
	ds_read2_b64 v[40:43], v60 offset0:108 offset1:162
	ds_read2_b64 v[20:23], v4 offset0:88 offset1:142
	v_add_u32_e32 v4, 0x800, v60
	v_add_u32_e32 v16, 0x1000, v60
	ds_read2_b64 v[8:11], v4 offset0:68 offset1:122
	ds_read2_b64 v[4:7], v4 offset0:176 offset1:230
	;; [unrolled: 1-line block ×4, first 2 shown]
	v_add_u32_e32 v16, 0x1400, v60
	ds_read2_b64 v[28:31], v16 offset0:116 offset1:170
	ds_read_b64 v[16:17], v60 offset:6912
.LBB0_5:
	s_or_b64 exec, exec, s[0:1]
	s_waitcnt lgkmcnt(0)
	v_accvgpr_write_b32 a6, v16
	v_pk_add_f32 v[86:87], v[2:3], v[16:17] neg_lo:[0,1] neg_hi:[0,1]
	s_mov_b32 s22, 0xbf2c7751
	v_pk_add_f32 v[54:55], v[16:17], v[2:3]
	v_accvgpr_write_b32 a7, v17
	v_pk_add_f32 v[90:91], v[40:41], v[30:31] neg_lo:[0,1] neg_hi:[0,1]
	s_mov_b32 s8, 0x3f3d2fb0
	v_pk_mul_f32 v[16:17], v[86:87], s[22:23] op_sel_hi:[1,0]
	s_mov_b32 s20, 0xbf7ee86f
	v_pk_add_f32 v[88:89], v[30:31], v[40:41]
	v_pk_fma_f32 v[32:33], v[54:55], s[8:9], v[16:17] op_sel:[0,0,1] op_sel_hi:[1,0,0]
	v_pk_fma_f32 v[46:47], v[54:55], s[8:9], v[16:17] op_sel:[0,0,1] op_sel_hi:[1,0,0] neg_lo:[0,0,1] neg_hi:[0,0,1]
	s_mov_b32 s0, 0x3dbcf732
	v_pk_mul_f32 v[16:17], v[90:91], s[20:21] op_sel_hi:[1,0]
	s_mov_b32 s24, 0xbf65296c
	v_pk_fma_f32 v[34:35], v[88:89], s[0:1], v[16:17] op_sel:[0,0,1] op_sel_hi:[1,0,0]
	v_pk_fma_f32 v[48:49], v[88:89], s[0:1], v[16:17] op_sel:[0,0,1] op_sel_hi:[1,0,0] neg_lo:[0,0,1] neg_hi:[0,0,1]
	s_mov_b32 s18, 0xbf4c4adb
	v_mov_b32_e32 v61, v33
	v_mov_b32_e32 v33, v47
	s_mov_b32 s10, 0x3ee437d1
	v_pk_mul_f32 v[16:17], v[86:87], s[24:25] op_sel_hi:[1,0]
	s_mov_b32 s16, 0xbf1a4643
	v_pk_mul_f32 v[18:19], v[90:91], s[18:19] op_sel_hi:[1,0]
	v_pk_add_f32 v[32:33], v[32:33], v[0:1]
	v_accvgpr_write_b32 a3, v35
	v_mov_b32_e32 v35, v49
	v_pk_add_f32 v[32:33], v[34:35], v[32:33]
	v_pk_fma_f32 v[34:35], v[88:89], s[16:17], v[18:19] op_sel:[0,0,1] op_sel_hi:[1,0,0]
	v_pk_fma_f32 v[56:57], v[88:89], s[16:17], v[18:19] op_sel:[0,0,1] op_sel_hi:[1,0,0] neg_lo:[0,0,1] neg_hi:[0,0,1]
	v_pk_fma_f32 v[18:19], v[54:55], s[10:11], v[16:17] op_sel:[0,0,1] op_sel_hi:[1,0,0]
	v_pk_fma_f32 v[58:59], v[54:55], s[10:11], v[16:17] op_sel:[0,0,1] op_sel_hi:[1,0,0] neg_lo:[0,0,1] neg_hi:[0,0,1]
	v_mov_b32_e32 v16, v18
	v_mov_b32_e32 v17, v59
	;; [unrolled: 1-line block ×3, first 2 shown]
	v_pk_add_f32 v[16:17], v[16:17], v[0:1]
	v_mov_b32_e32 v18, v34
	v_mov_b32_e32 v19, v57
	v_pk_add_f32 v[120:121], v[42:43], v[28:29] neg_lo:[0,1] neg_hi:[0,1]
	v_pk_add_f32 v[16:17], v[18:19], v[16:17]
	v_pk_add_f32 v[114:115], v[28:29], v[42:43]
	v_pk_mul_f32 v[18:19], v[120:121], s[18:19] op_sel_hi:[1,0]
	v_mov_b32_e32 v47, v35
	v_pk_fma_f32 v[34:35], v[114:115], s[16:17], v[18:19] op_sel:[0,0,1] op_sel_hi:[1,0,0]
	v_pk_fma_f32 v[70:71], v[114:115], s[16:17], v[18:19] op_sel:[0,0,1] op_sel_hi:[1,0,0] neg_lo:[0,0,1] neg_hi:[0,0,1]
	v_mov_b32_e32 v18, v34
	v_mov_b32_e32 v19, v71
	s_mov_b32 s28, 0x3e3c28d5
	v_pk_add_f32 v[18:19], v[18:19], v[32:33]
	s_mov_b32 s26, 0xbf7ba420
	v_pk_mul_f32 v[32:33], v[120:121], s[28:29] op_sel_hi:[1,0]
	v_accvgpr_write_b32 a9, v35
	v_pk_fma_f32 v[34:35], v[114:115], s[26:27], v[32:33] op_sel:[0,0,1] op_sel_hi:[1,0,0]
	v_pk_fma_f32 v[66:67], v[114:115], s[26:27], v[32:33] op_sel:[0,0,1] op_sel_hi:[1,0,0] neg_lo:[0,0,1] neg_hi:[0,0,1]
	v_mov_b32_e32 v32, v34
	v_mov_b32_e32 v33, v67
	s_mov_b32 s28, 0xbe3c28d5
	v_pk_add_f32 v[134:135], v[20:21], v[26:27] neg_lo:[0,1] neg_hi:[0,1]
	v_pk_add_f32 v[16:17], v[32:33], v[16:17]
	v_pk_add_f32 v[128:129], v[26:27], v[20:21]
	v_pk_mul_f32 v[32:33], v[134:135], s[28:29] op_sel:[1,0] op_sel_hi:[0,0]
	v_mov_b32_e32 v71, v35
	v_pk_fma_f32 v[34:35], v[128:129], s[26:27], v[32:33] op_sel_hi:[1,0,1]
	v_pk_fma_f32 v[84:85], v[128:129], s[26:27], v[32:33] op_sel_hi:[1,0,1] neg_lo:[0,0,1] neg_hi:[0,0,1]
	v_mov_b32_e32 v32, v34
	v_mov_b32_e32 v33, v85
	s_mov_b32 s42, 0x3f763a35
	v_pk_add_f32 v[18:19], v[32:33], v[18:19]
	s_mov_b32 s30, 0xbe8c1d8e
	v_pk_mul_f32 v[32:33], v[134:135], s[42:43] op_sel:[1,0] op_sel_hi:[0,0]
	v_accvgpr_write_b32 a13, v35
	v_pk_fma_f32 v[34:35], v[128:129], s[30:31], v[32:33] op_sel_hi:[1,0,1]
	v_pk_fma_f32 v[78:79], v[128:129], s[30:31], v[32:33] op_sel_hi:[1,0,1] neg_lo:[0,0,1] neg_hi:[0,0,1]
	v_mov_b32_e32 v32, v34
	v_mov_b32_e32 v33, v79
	s_mov_b32 s52, 0x3f06c442
	v_pk_add_f32 v[154:155], v[22:23], v[24:25] neg_lo:[0,1] neg_hi:[0,1]
	v_pk_add_f32 v[16:17], v[32:33], v[16:17]
	s_mov_b32 s34, 0xbf59a7d5
	v_pk_add_f32 v[152:153], v[24:25], v[22:23]
	v_pk_mul_f32 v[32:33], v[154:155], s[52:53] op_sel:[1,0] op_sel_hi:[0,0]
	v_accvgpr_write_b32 a11, v35
	v_pk_fma_f32 v[34:35], v[152:153], s[34:35], v[32:33] op_sel_hi:[1,0,1]
	v_pk_fma_f32 v[100:101], v[152:153], s[34:35], v[32:33] op_sel_hi:[1,0,1] neg_lo:[0,0,1] neg_hi:[0,0,1]
	v_mov_b32_e32 v32, v34
	v_mov_b32_e32 v33, v101
	s_mov_b32 s36, 0x3f2c7751
	v_pk_add_f32 v[18:19], v[32:33], v[18:19]
	v_pk_mul_f32 v[32:33], v[154:155], s[36:37] op_sel:[1,0] op_sel_hi:[0,0]
	v_mov_b32_e32 v79, v35
	v_pk_fma_f32 v[34:35], v[152:153], s[8:9], v[32:33] op_sel_hi:[1,0,1]
	v_pk_fma_f32 v[96:97], v[152:153], s[8:9], v[32:33] op_sel_hi:[1,0,1] neg_lo:[0,0,1] neg_hi:[0,0,1]
	v_mov_b32_e32 v32, v34
	v_mov_b32_e32 v33, v97
	v_pk_add_f32 v[200:201], v[8:9], v[14:15] neg_lo:[0,1] neg_hi:[0,1]
	v_pk_add_f32 v[16:17], v[32:33], v[16:17]
	v_pk_add_f32 v[198:199], v[14:15], v[8:9]
	v_pk_mul_f32 v[32:33], v[200:201], s[42:43] op_sel:[1,0] op_sel_hi:[0,0]
	v_accvgpr_write_b32 a15, v35
	v_pk_fma_f32 v[34:35], v[198:199], s[30:31], v[32:33] op_sel_hi:[1,0,1]
	v_pk_fma_f32 v[108:109], v[198:199], s[30:31], v[32:33] op_sel_hi:[1,0,1] neg_lo:[0,0,1] neg_hi:[0,0,1]
	v_mov_b32_e32 v32, v34
	v_mov_b32_e32 v33, v109
	s_mov_b32 s48, 0xbeb8f4ab
	v_pk_add_f32 v[18:19], v[32:33], v[18:19]
	s_mov_b32 s40, 0x3f6eb680
	v_pk_mul_f32 v[32:33], v[200:201], s[48:49] op_sel:[1,0] op_sel_hi:[0,0]
	v_mov_b32_e32 v97, v35
	v_pk_fma_f32 v[34:35], v[198:199], s[40:41], v[32:33] op_sel_hi:[1,0,1]
	v_pk_fma_f32 v[104:105], v[198:199], s[40:41], v[32:33] op_sel_hi:[1,0,1] neg_lo:[0,0,1] neg_hi:[0,0,1]
	v_mov_b32_e32 v32, v34
	v_mov_b32_e32 v33, v105
	s_mov_b32 s38, 0x3f65296c
	v_pk_add_f32 v[242:243], v[10:11], v[12:13] neg_lo:[0,1] neg_hi:[0,1]
	v_pk_add_f32 v[16:17], v[32:33], v[16:17]
	v_pk_add_f32 v[240:241], v[12:13], v[10:11]
	v_pk_mul_f32 v[32:33], v[242:243], s[38:39] op_sel:[1,0] op_sel_hi:[0,0]
	v_accvgpr_write_b32 a17, v35
	v_pk_fma_f32 v[34:35], v[240:241], s[10:11], v[32:33] op_sel_hi:[1,0,1]
	v_pk_fma_f32 v[118:119], v[240:241], s[10:11], v[32:33] op_sel_hi:[1,0,1] neg_lo:[0,0,1] neg_hi:[0,0,1]
	v_mov_b32_e32 v32, v34
	v_mov_b32_e32 v33, v119
	v_pk_add_f32 v[18:19], v[32:33], v[18:19]
	v_pk_mul_f32 v[32:33], v[242:243], s[20:21] op_sel:[1,0] op_sel_hi:[0,0]
	v_mov_b32_e32 v105, v35
	v_pk_fma_f32 v[34:35], v[240:241], s[0:1], v[32:33] op_sel_hi:[1,0,1]
	v_pk_fma_f32 v[112:113], v[240:241], s[0:1], v[32:33] op_sel_hi:[1,0,1] neg_lo:[0,0,1] neg_hi:[0,0,1]
	v_mov_b32_e32 v32, v34
	v_mov_b32_e32 v33, v113
	s_mov_b32 s46, 0x3eb8f4ab
	v_pk_add_f32 v[248:249], v[4:5], v[6:7] neg_lo:[0,1] neg_hi:[0,1]
	v_pk_add_f32 v[16:17], v[32:33], v[16:17]
	v_pk_add_f32 v[246:247], v[6:7], v[4:5]
	v_pk_mul_f32 v[32:33], v[248:249], s[46:47] op_sel:[1,0] op_sel_hi:[0,0]
	v_accvgpr_write_b32 a19, v35
	v_pk_fma_f32 v[34:35], v[246:247], s[40:41], v[32:33] op_sel_hi:[1,0,1]
	v_pk_fma_f32 v[144:145], v[246:247], s[40:41], v[32:33] op_sel_hi:[1,0,1] neg_lo:[0,0,1] neg_hi:[0,0,1]
	s_mov_b32 s44, 0xbf06c442
	v_mov_b32_e32 v32, v34
	v_mov_b32_e32 v33, v145
	v_pk_add_f32 v[18:19], v[32:33], v[18:19]
	v_pk_mul_f32 v[32:33], v[248:249], s[44:45] op_sel:[1,0] op_sel_hi:[0,0]
	v_mov_b32_e32 v113, v35
	v_pk_fma_f32 v[34:35], v[246:247], s[34:35], v[32:33] op_sel_hi:[1,0,1]
	v_pk_fma_f32 v[130:131], v[246:247], s[34:35], v[32:33] op_sel_hi:[1,0,1] neg_lo:[0,0,1] neg_hi:[0,0,1]
	v_mov_b32_e32 v32, v34
	v_mov_b32_e32 v33, v131
	v_pk_add_f32 v[16:17], v[32:33], v[16:17]
	v_pk_mul_f32 v[32:33], v[86:87], s[20:21] op_sel_hi:[1,0]
	v_accvgpr_write_b32 a21, v35
	v_pk_fma_f32 v[34:35], v[54:55], s[0:1], v[32:33] op_sel:[0,0,1] op_sel_hi:[1,0,0]
	v_pk_fma_f32 v[122:123], v[54:55], s[0:1], v[32:33] op_sel:[0,0,1] op_sel_hi:[1,0,0] neg_lo:[0,0,1] neg_hi:[0,0,1]
	v_mov_b32_e32 v57, v35
	v_mov_b32_e32 v32, v34
	v_pk_mul_f32 v[34:35], v[90:91], s[28:29] op_sel_hi:[1,0]
	v_mov_b32_e32 v33, v123
	v_pk_fma_f32 v[36:37], v[88:89], s[26:27], v[34:35] op_sel:[0,0,1] op_sel_hi:[1,0,0]
	v_pk_fma_f32 v[132:133], v[88:89], s[26:27], v[34:35] op_sel:[0,0,1] op_sel_hi:[1,0,0] neg_lo:[0,0,1] neg_hi:[0,0,1]
	v_mov_b32_e32 v34, v36
	v_mov_b32_e32 v35, v133
	v_pk_add_f32 v[32:33], v[32:33], v[0:1]
	s_mov_b32 s50, 0xbf763a35
	v_pk_add_f32 v[32:33], v[34:35], v[32:33]
	v_pk_mul_f32 v[34:35], v[120:121], s[42:43] op_sel_hi:[1,0]
	v_mov_b32_e32 v59, v37
	v_pk_fma_f32 v[214:215], v[114:115], s[30:31], v[34:35] op_sel:[0,0,1] op_sel_hi:[1,0,0]
	v_pk_fma_f32 v[138:139], v[114:115], s[30:31], v[34:35] op_sel:[0,0,1] op_sel_hi:[1,0,0] neg_lo:[0,0,1] neg_hi:[0,0,1]
	v_mov_b32_e32 v34, v214
	v_mov_b32_e32 v35, v139
	v_pk_add_f32 v[32:33], v[34:35], v[32:33]
	v_pk_mul_f32 v[34:35], v[86:87], s[50:51] op_sel_hi:[1,0]
	v_pk_mul_f32 v[36:37], v[90:91], s[52:53] op_sel_hi:[1,0]
	v_pk_fma_f32 v[224:225], v[54:55], s[30:31], v[34:35] op_sel:[0,0,1] op_sel_hi:[1,0,0]
	v_pk_fma_f32 v[124:125], v[54:55], s[30:31], v[34:35] op_sel:[0,0,1] op_sel_hi:[1,0,0] neg_lo:[0,0,1] neg_hi:[0,0,1]
	v_mov_b32_e32 v34, v224
	v_mov_b32_e32 v35, v125
	v_pk_fma_f32 v[230:231], v[88:89], s[34:35], v[36:37] op_sel:[0,0,1] op_sel_hi:[1,0,0]
	v_pk_fma_f32 v[136:137], v[88:89], s[34:35], v[36:37] op_sel:[0,0,1] op_sel_hi:[1,0,0] neg_lo:[0,0,1] neg_hi:[0,0,1]
	v_mov_b32_e32 v36, v230
	v_mov_b32_e32 v37, v137
	v_pk_add_f32 v[34:35], v[34:35], v[0:1]
	s_mov_b32 s52, 0x3f7ee86f
	v_pk_add_f32 v[34:35], v[36:37], v[34:35]
	v_pk_mul_f32 v[36:37], v[120:121], s[36:37] op_sel_hi:[1,0]
	s_mov_b32 s54, 0x3f4c4adb
	v_pk_fma_f32 v[238:239], v[114:115], s[8:9], v[36:37] op_sel:[0,0,1] op_sel_hi:[1,0,0]
	v_pk_fma_f32 v[140:141], v[114:115], s[8:9], v[36:37] op_sel:[0,0,1] op_sel_hi:[1,0,0] neg_lo:[0,0,1] neg_hi:[0,0,1]
	v_mov_b32_e32 v36, v238
	v_mov_b32_e32 v37, v141
	v_pk_add_f32 v[34:35], v[36:37], v[34:35]
	v_pk_mul_f32 v[36:37], v[134:135], s[46:47] op_sel:[1,0] op_sel_hi:[0,0]
	v_pk_fma_f32 v[236:237], v[128:129], s[40:41], v[36:37] op_sel_hi:[1,0,1]
	v_pk_fma_f32 v[150:151], v[128:129], s[40:41], v[36:37] op_sel_hi:[1,0,1] neg_lo:[0,0,1] neg_hi:[0,0,1]
	v_mov_b32_e32 v36, v236
	v_mov_b32_e32 v37, v151
	v_pk_add_f32 v[32:33], v[36:37], v[32:33]
	v_pk_mul_f32 v[36:37], v[134:135], s[24:25] op_sel:[1,0] op_sel_hi:[0,0]
	v_pk_fma_f32 v[244:245], v[128:129], s[10:11], v[36:37] op_sel_hi:[1,0,1]
	v_pk_fma_f32 v[146:147], v[128:129], s[10:11], v[36:37] op_sel_hi:[1,0,1] neg_lo:[0,0,1] neg_hi:[0,0,1]
	;; [unrolled: 6-line block ×4, first 2 shown]
	v_mov_b32_e32 v36, v250
	v_mov_b32_e32 v37, v149
	v_pk_add_f32 v[34:35], v[36:37], v[34:35]
	v_pk_mul_f32 v[36:37], v[200:201], s[44:45] op_sel:[1,0] op_sel_hi:[0,0]
	v_accvgpr_write_b32 a23, v39
	v_pk_fma_f32 v[38:39], v[198:199], s[34:35], v[36:37] op_sel_hi:[1,0,1]
	v_pk_fma_f32 v[166:167], v[198:199], s[34:35], v[36:37] op_sel_hi:[1,0,1] neg_lo:[0,0,1] neg_hi:[0,0,1]
	v_mov_b32_e32 v36, v38
	v_mov_b32_e32 v37, v167
	v_pk_add_f32 v[32:33], v[36:37], v[32:33]
	v_pk_mul_f32 v[36:37], v[200:201], s[52:53] op_sel:[1,0] op_sel_hi:[0,0]
	v_accvgpr_write_b32 a27, v39
	v_pk_fma_f32 v[38:39], v[198:199], s[0:1], v[36:37] op_sel_hi:[1,0,1]
	v_pk_fma_f32 v[160:161], v[198:199], s[0:1], v[36:37] op_sel_hi:[1,0,1] neg_lo:[0,0,1] neg_hi:[0,0,1]
	;; [unrolled: 7-line block ×3, first 2 shown]
	v_mov_b32_e32 v36, v38
	v_mov_b32_e32 v37, v181
	v_pk_add_f32 v[32:33], v[36:37], v[32:33]
	v_pk_mul_f32 v[36:37], v[242:243], s[48:49] op_sel:[1,0] op_sel_hi:[0,0]
	v_mov_b32_e32 v161, v39
	v_pk_fma_f32 v[38:39], v[240:241], s[40:41], v[36:37] op_sel_hi:[1,0,1]
	v_pk_fma_f32 v[170:171], v[240:241], s[40:41], v[36:37] op_sel_hi:[1,0,1] neg_lo:[0,0,1] neg_hi:[0,0,1]
	v_mov_b32_e32 v36, v38
	v_mov_b32_e32 v37, v171
	v_pk_add_f32 v[36:37], v[36:37], v[34:35]
	v_pk_mul_f32 v[34:35], v[248:249], s[36:37] op_sel:[1,0] op_sel_hi:[0,0]
	v_accvgpr_write_b32 a29, v39
	v_pk_fma_f32 v[38:39], v[246:247], s[8:9], v[34:35] op_sel_hi:[1,0,1]
	v_pk_fma_f32 v[188:189], v[246:247], s[8:9], v[34:35] op_sel_hi:[1,0,1] neg_lo:[0,0,1] neg_hi:[0,0,1]
	v_mov_b32_e32 v34, v38
	v_mov_b32_e32 v35, v189
	v_pk_add_f32 v[34:35], v[34:35], v[32:33]
	v_pk_mul_f32 v[32:33], v[248:249], s[18:19] op_sel:[1,0] op_sel_hi:[0,0]
	v_mov_b32_e32 v171, v39
	v_pk_fma_f32 v[38:39], v[246:247], s[16:17], v[32:33] op_sel_hi:[1,0,1]
	v_pk_fma_f32 v[176:177], v[246:247], s[16:17], v[32:33] op_sel_hi:[1,0,1] neg_lo:[0,0,1] neg_hi:[0,0,1]
	v_mov_b32_e32 v32, v38
	v_mov_b32_e32 v33, v177
	v_pk_add_f32 v[32:33], v[32:33], v[36:37]
	v_pk_mul_f32 v[36:37], v[86:87], s[18:19] op_sel_hi:[1,0]
	v_accvgpr_write_b32 a31, v39
	v_pk_fma_f32 v[254:255], v[54:55], s[16:17], v[36:37] op_sel:[0,0,1] op_sel_hi:[1,0,0]
	v_pk_fma_f32 v[172:173], v[54:55], s[16:17], v[36:37] op_sel:[0,0,1] op_sel_hi:[1,0,0] neg_lo:[0,0,1] neg_hi:[0,0,1]
	v_pk_mul_f32 v[38:39], v[90:91], s[42:43] op_sel_hi:[1,0]
	v_mov_b32_e32 v36, v254
	v_mov_b32_e32 v37, v173
	v_pk_fma_f32 v[50:51], v[88:89], s[30:31], v[38:39] op_sel:[0,0,1] op_sel_hi:[1,0,0]
	v_pk_fma_f32 v[182:183], v[88:89], s[30:31], v[38:39] op_sel:[0,0,1] op_sel_hi:[1,0,0] neg_lo:[0,0,1] neg_hi:[0,0,1]
	v_mov_b32_e32 v38, v50
	v_mov_b32_e32 v39, v183
	v_pk_add_f32 v[36:37], v[36:37], v[0:1]
	v_pk_mul_f32 v[44:45], v[90:91], s[38:39] op_sel_hi:[1,0]
	v_pk_add_f32 v[36:37], v[38:39], v[36:37]
	v_pk_mul_f32 v[38:39], v[120:121], s[48:49] op_sel_hi:[1,0]
	v_pk_fma_f32 v[72:73], v[88:89], s[10:11], v[44:45] op_sel:[0,0,1] op_sel_hi:[1,0,0]
	v_pk_fma_f32 v[52:53], v[114:115], s[40:41], v[38:39] op_sel:[0,0,1] op_sel_hi:[1,0,0]
	v_pk_fma_f32 v[184:185], v[114:115], s[40:41], v[38:39] op_sel:[0,0,1] op_sel_hi:[1,0,0] neg_lo:[0,0,1] neg_hi:[0,0,1]
	v_mov_b32_e32 v38, v52
	v_mov_b32_e32 v39, v185
	v_pk_add_f32 v[36:37], v[38:39], v[36:37]
	v_pk_mul_f32 v[38:39], v[134:135], s[44:45] op_sel:[1,0] op_sel_hi:[0,0]
	v_pk_fma_f32 v[106:107], v[128:129], s[34:35], v[38:39] op_sel_hi:[1,0,1]
	v_pk_fma_f32 v[190:191], v[128:129], s[34:35], v[38:39] op_sel_hi:[1,0,1] neg_lo:[0,0,1] neg_hi:[0,0,1]
	v_mov_b32_e32 v38, v106
	v_mov_b32_e32 v39, v191
	v_pk_add_f32 v[36:37], v[38:39], v[36:37]
	v_pk_mul_f32 v[38:39], v[154:155], s[52:53] op_sel:[1,0] op_sel_hi:[0,0]
	v_pk_fma_f32 v[116:117], v[152:153], s[0:1], v[38:39] op_sel_hi:[1,0,1]
	v_pk_fma_f32 v[194:195], v[152:153], s[0:1], v[38:39] op_sel_hi:[1,0,1] neg_lo:[0,0,1] neg_hi:[0,0,1]
	v_mov_b32_e32 v38, v116
	v_mov_b32_e32 v39, v195
	v_pk_add_f32 v[36:37], v[38:39], v[36:37]
	v_pk_mul_f32 v[38:39], v[86:87], s[44:45] op_sel_hi:[1,0]
	v_pk_fma_f32 v[196:197], v[88:89], s[10:11], v[44:45] op_sel:[0,0,1] op_sel_hi:[1,0,0] neg_lo:[0,0,1] neg_hi:[0,0,1]
	v_pk_fma_f32 v[68:69], v[54:55], s[34:35], v[38:39] op_sel:[0,0,1] op_sel_hi:[1,0,0]
	v_pk_fma_f32 v[192:193], v[54:55], s[34:35], v[38:39] op_sel:[0,0,1] op_sel_hi:[1,0,0] neg_lo:[0,0,1] neg_hi:[0,0,1]
	v_mov_b32_e32 v38, v68
	v_mov_b32_e32 v39, v193
	;; [unrolled: 1-line block ×4, first 2 shown]
	v_pk_add_f32 v[38:39], v[38:39], v[0:1]
	v_pk_mul_f32 v[64:65], v[90:91], s[22:23] op_sel_hi:[1,0]
	v_pk_add_f32 v[38:39], v[44:45], v[38:39]
	v_pk_mul_f32 v[44:45], v[120:121], s[20:21] op_sel_hi:[1,0]
	v_pk_fma_f32 v[94:95], v[88:89], s[8:9], v[64:65] op_sel:[0,0,1] op_sel_hi:[1,0,0]
	v_pk_fma_f32 v[74:75], v[114:115], s[0:1], v[44:45] op_sel:[0,0,1] op_sel_hi:[1,0,0]
	v_pk_fma_f32 v[202:203], v[114:115], s[0:1], v[44:45] op_sel:[0,0,1] op_sel_hi:[1,0,0] neg_lo:[0,0,1] neg_hi:[0,0,1]
	v_mov_b32_e32 v44, v74
	v_mov_b32_e32 v45, v203
	v_pk_add_f32 v[38:39], v[44:45], v[38:39]
	v_pk_mul_f32 v[44:45], v[134:135], s[54:55] op_sel:[1,0] op_sel_hi:[0,0]
	v_pk_fma_f32 v[80:81], v[128:129], s[16:17], v[44:45] op_sel_hi:[1,0,1]
	v_pk_fma_f32 v[204:205], v[128:129], s[16:17], v[44:45] op_sel_hi:[1,0,1] neg_lo:[0,0,1] neg_hi:[0,0,1]
	v_mov_b32_e32 v44, v80
	v_mov_b32_e32 v45, v205
	v_pk_add_f32 v[38:39], v[44:45], v[38:39]
	v_pk_mul_f32 v[44:45], v[154:155], s[48:49] op_sel:[1,0] op_sel_hi:[0,0]
	v_pk_fma_f32 v[92:93], v[152:153], s[40:41], v[44:45] op_sel_hi:[1,0,1]
	v_pk_fma_f32 v[206:207], v[152:153], s[40:41], v[44:45] op_sel_hi:[1,0,1] neg_lo:[0,0,1] neg_hi:[0,0,1]
	v_mov_b32_e32 v44, v92
	v_mov_b32_e32 v45, v207
	v_pk_add_f32 v[38:39], v[44:45], v[38:39]
	v_pk_mul_f32 v[44:45], v[200:201], s[22:23] op_sel:[1,0] op_sel_hi:[0,0]
	v_pk_fma_f32 v[82:83], v[198:199], s[8:9], v[44:45] op_sel_hi:[1,0,1]
	v_pk_fma_f32 v[216:217], v[198:199], s[8:9], v[44:45] op_sel_hi:[1,0,1] neg_lo:[0,0,1] neg_hi:[0,0,1]
	v_mov_b32_e32 v44, v82
	v_mov_b32_e32 v45, v217
	v_pk_add_f32 v[36:37], v[44:45], v[36:37]
	v_pk_mul_f32 v[44:45], v[200:201], s[28:29] op_sel:[1,0] op_sel_hi:[0,0]
	v_pk_fma_f32 v[102:103], v[198:199], s[26:27], v[44:45] op_sel_hi:[1,0,1]
	v_pk_fma_f32 v[212:213], v[198:199], s[26:27], v[44:45] op_sel_hi:[1,0,1] neg_lo:[0,0,1] neg_hi:[0,0,1]
	v_mov_b32_e32 v44, v102
	v_mov_b32_e32 v45, v213
	v_pk_add_f32 v[38:39], v[44:45], v[38:39]
	v_pk_mul_f32 v[44:45], v[242:243], s[28:29] op_sel:[1,0] op_sel_hi:[0,0]
	v_pk_fma_f32 v[220:221], v[240:241], s[26:27], v[44:45] op_sel_hi:[1,0,1]
	v_pk_fma_f32 v[222:223], v[240:241], s[26:27], v[44:45] op_sel_hi:[1,0,1] neg_lo:[0,0,1] neg_hi:[0,0,1]
	v_mov_b32_e32 v44, v220
	v_mov_b32_e32 v45, v223
	v_pk_add_f32 v[36:37], v[44:45], v[36:37]
	v_pk_mul_f32 v[44:45], v[242:243], s[36:37] op_sel:[1,0] op_sel_hi:[0,0]
	v_pk_fma_f32 v[186:187], v[240:241], s[8:9], v[44:45] op_sel_hi:[1,0,1]
	v_pk_fma_f32 v[218:219], v[240:241], s[8:9], v[44:45] op_sel_hi:[1,0,1] neg_lo:[0,0,1] neg_hi:[0,0,1]
	v_mov_b32_e32 v44, v186
	v_mov_b32_e32 v45, v219
	v_pk_add_f32 v[44:45], v[44:45], v[38:39]
	v_pk_mul_f32 v[38:39], v[248:249], s[38:39] op_sel:[1,0] op_sel_hi:[0,0]
	v_pk_fma_f32 v[232:233], v[246:247], s[10:11], v[38:39] op_sel_hi:[1,0,1]
	v_pk_fma_f32 v[234:235], v[246:247], s[10:11], v[38:39] op_sel_hi:[1,0,1] neg_lo:[0,0,1] neg_hi:[0,0,1]
	v_mov_b32_e32 v38, v232
	v_mov_b32_e32 v39, v235
	v_pk_add_f32 v[38:39], v[38:39], v[36:37]
	v_pk_mul_f32 v[36:37], v[248:249], s[50:51] op_sel:[1,0] op_sel_hi:[0,0]
	v_pk_fma_f32 v[226:227], v[246:247], s[30:31], v[36:37] op_sel_hi:[1,0,1]
	v_pk_fma_f32 v[228:229], v[246:247], s[30:31], v[36:37] op_sel_hi:[1,0,1] neg_lo:[0,0,1] neg_hi:[0,0,1]
	v_mov_b32_e32 v36, v226
	v_mov_b32_e32 v37, v229
	v_pk_add_f32 v[36:37], v[36:37], v[44:45]
	v_pk_mul_f32 v[44:45], v[86:87], s[48:49] op_sel_hi:[1,0]
	v_pk_fma_f32 v[64:65], v[88:89], s[8:9], v[64:65] op_sel:[0,0,1] op_sel_hi:[1,0,0] neg_lo:[0,0,1] neg_hi:[0,0,1]
	v_pk_fma_f32 v[168:169], v[54:55], s[40:41], v[44:45] op_sel:[0,0,1] op_sel_hi:[1,0,0]
	v_pk_fma_f32 v[62:63], v[54:55], s[40:41], v[44:45] op_sel:[0,0,1] op_sel_hi:[1,0,0] neg_lo:[0,0,1] neg_hi:[0,0,1]
	v_mov_b32_e32 v44, v168
	v_mov_b32_e32 v45, v63
	v_pk_add_f32 v[44:45], v[44:45], v[0:1]
	v_mov_b32_e32 v76, v94
	v_mov_b32_e32 v77, v65
	v_pk_add_f32 v[44:45], v[76:77], v[44:45]
	v_pk_mul_f32 v[76:77], v[120:121], s[24:25] op_sel_hi:[1,0]
	s_nop 0
	v_pk_fma_f32 v[110:111], v[114:115], s[10:11], v[76:77] op_sel:[0,0,1] op_sel_hi:[1,0,0]
	v_pk_fma_f32 v[98:99], v[114:115], s[10:11], v[76:77] op_sel:[0,0,1] op_sel_hi:[1,0,0] neg_lo:[0,0,1] neg_hi:[0,0,1]
	v_mov_b32_e32 v76, v110
	v_mov_b32_e32 v77, v99
	v_pk_add_f32 v[44:45], v[76:77], v[44:45]
	v_pk_mul_f32 v[76:77], v[134:135], s[20:21] op_sel:[1,0] op_sel_hi:[0,0]
	v_pk_fma_f32 v[142:143], v[128:129], s[0:1], v[76:77] op_sel_hi:[1,0,1]
	v_pk_fma_f32 v[126:127], v[128:129], s[0:1], v[76:77] op_sel_hi:[1,0,1] neg_lo:[0,0,1] neg_hi:[0,0,1]
	v_mov_b32_e32 v76, v142
	v_mov_b32_e32 v77, v127
	v_pk_add_f32 v[44:45], v[76:77], v[44:45]
	v_pk_mul_f32 v[76:77], v[154:155], s[50:51] op_sel:[1,0] op_sel_hi:[0,0]
	v_pk_fma_f32 v[158:159], v[152:153], s[30:31], v[76:77] op_sel_hi:[1,0,1]
	v_pk_fma_f32 v[156:157], v[152:153], s[30:31], v[76:77] op_sel_hi:[1,0,1] neg_lo:[0,0,1] neg_hi:[0,0,1]
	;; [unrolled: 6-line block ×5, first 2 shown]
	v_mov_b32_e32 v208, v210
	v_mov_b32_e32 v209, v45
	v_pk_add_f32 v[208:209], v[208:209], v[252:253]
	s_barrier
	v_accvgpr_write_b32 a4, v208
	v_accvgpr_write_b32 a5, v209
	v_pk_mul_f32 v[208:209], v[86:87], s[28:29] op_sel_hi:[1,0]
	s_nop 0
	v_pk_fma_f32 v[86:87], v[54:55], s[26:27], v[208:209] op_sel:[0,0,1] op_sel_hi:[1,0,0]
	v_pk_fma_f32 v[252:253], v[54:55], s[26:27], v[208:209] op_sel:[0,0,1] op_sel_hi:[1,0,0] neg_lo:[0,0,1] neg_hi:[0,0,1]
	v_pk_mul_f32 v[54:55], v[90:91], s[46:47] op_sel_hi:[1,0]
	s_nop 0
	v_pk_fma_f32 v[90:91], v[88:89], s[40:41], v[54:55] op_sel:[0,0,1] op_sel_hi:[1,0,0]
	v_pk_fma_f32 v[88:89], v[88:89], s[40:41], v[54:55] op_sel:[0,0,1] op_sel_hi:[1,0,0] neg_lo:[0,0,1] neg_hi:[0,0,1]
	v_pk_mul_f32 v[54:55], v[120:121], s[44:45] op_sel_hi:[1,0]
	v_mov_b32_e32 v208, v90
	v_pk_fma_f32 v[120:121], v[114:115], s[34:35], v[54:55] op_sel:[0,0,1] op_sel_hi:[1,0,0]
	v_pk_fma_f32 v[114:115], v[114:115], s[34:35], v[54:55] op_sel:[0,0,1] op_sel_hi:[1,0,0] neg_lo:[0,0,1] neg_hi:[0,0,1]
	v_pk_mul_f32 v[54:55], v[134:135], s[36:37] op_sel:[1,0] op_sel_hi:[0,0]
	v_pk_fma_f32 v[134:135], v[128:129], s[8:9], v[54:55] op_sel_hi:[1,0,1]
	v_pk_fma_f32 v[128:129], v[128:129], s[8:9], v[54:55] op_sel_hi:[1,0,1] neg_lo:[0,0,1] neg_hi:[0,0,1]
	v_pk_mul_f32 v[54:55], v[154:155], s[18:19] op_sel:[1,0] op_sel_hi:[0,0]
	v_pk_fma_f32 v[154:155], v[152:153], s[16:17], v[54:55] op_sel_hi:[1,0,1]
	v_pk_fma_f32 v[152:153], v[152:153], s[16:17], v[54:55] op_sel_hi:[1,0,1] neg_lo:[0,0,1] neg_hi:[0,0,1]
	;; [unrolled: 3-line block ×4, first 2 shown]
	v_mov_b32_e32 v54, v86
	v_mov_b32_e32 v55, v253
	;; [unrolled: 1-line block ×3, first 2 shown]
	v_pk_add_f32 v[54:55], v[54:55], v[0:1]
	s_nop 0
	v_pk_add_f32 v[54:55], v[208:209], v[54:55]
	v_mov_b32_e32 v208, v120
	v_mov_b32_e32 v209, v115
	v_pk_add_f32 v[54:55], v[208:209], v[54:55]
	v_mov_b32_e32 v208, v134
	v_mov_b32_e32 v209, v129
	;; [unrolled: 3-line block ×5, first 2 shown]
	v_pk_add_f32 v[54:55], v[208:209], v[54:55]
	v_pk_mul_f32 v[208:209], v[248:249], s[52:53] op_sel:[1,0] op_sel_hi:[0,0]
	v_pk_fma_f32 v[248:249], v[246:247], s[0:1], v[208:209] op_sel_hi:[1,0,1]
	v_pk_fma_f32 v[246:247], v[246:247], s[0:1], v[208:209] op_sel_hi:[1,0,1] neg_lo:[0,0,1] neg_hi:[0,0,1]
	v_mov_b32_e32 v208, v248
	v_mov_b32_e32 v209, v247
	v_pk_add_f32 v[54:55], v[208:209], v[54:55]
	v_accvgpr_read_b32 v209, a1
	v_accvgpr_read_b32 v208, a0
	v_mul_lo_u16_e32 v94, 17, v208
	s_and_saveexec_b64 s[0:1], s[4:5]
	s_cbranch_execz .LBB0_7
; %bb.6:
	v_pk_add_f32 v[2:3], v[2:3], v[0:1]
	v_mov_b32_e32 v63, v169
	v_pk_add_f32 v[2:3], v[40:41], v[2:3]
	v_mov_b32_e32 v65, v95
	;; [unrolled: 2-line block ×7, first 2 shown]
	v_pk_add_f32 v[2:3], v[4:5], v[2:3]
	v_accvgpr_read_b32 v4, a6
	v_pk_add_f32 v[2:3], v[6:7], v[2:3]
	v_accvgpr_read_b32 v5, a7
	v_pk_add_f32 v[2:3], v[12:13], v[2:3]
	v_mov_b32_e32 v45, v211
	v_pk_add_f32 v[2:3], v[14:15], v[2:3]
	v_mov_b32_e32 v123, v57
	;; [unrolled: 2-line block ×6, first 2 shown]
	v_pk_add_f32 v[2:3], v[4:5], v[2:3]
	v_pk_add_f32 v[4:5], v[62:63], v[0:1]
	v_lshlrev_b32_e32 v20, 3, v94
	v_pk_add_f32 v[4:5], v[64:65], v[4:5]
	v_accvgpr_read_b32 v49, a3
	v_pk_add_f32 v[4:5], v[98:99], v[4:5]
	v_mov_b32_e32 v67, v71
	v_pk_add_f32 v[4:5], v[126:127], v[4:5]
	v_accvgpr_read_b32 v71, a9
	v_pk_add_f32 v[4:5], v[156:157], v[4:5]
	v_accvgpr_read_b32 v85, a13
	v_pk_add_f32 v[4:5], v[76:77], v[4:5]
	v_mov_b32_e32 v101, v79
	v_pk_add_f32 v[4:5], v[174:175], v[4:5]
	v_accvgpr_read_b32 v79, a11
	v_pk_add_f32 v[4:5], v[44:45], v[4:5]
	ds_write2_b64 v20, v[2:3], v[4:5] offset1:1
	v_pk_add_f32 v[2:3], v[46:47], v[0:1]
	v_pk_add_f32 v[4:5], v[58:59], v[0:1]
	;; [unrolled: 1-line block ×7, first 2 shown]
	v_mov_b32_e32 v109, v97
	v_pk_add_f32 v[4:5], v[78:79], v[4:5]
	v_accvgpr_read_b32 v97, a15
	v_pk_add_f32 v[2:3], v[100:101], v[2:3]
	v_mov_b32_e32 v119, v105
	v_pk_add_f32 v[4:5], v[96:97], v[4:5]
	v_accvgpr_read_b32 v105, a17
	v_pk_add_f32 v[2:3], v[108:109], v[2:3]
	v_mov_b32_e32 v145, v113
	v_pk_add_f32 v[4:5], v[104:105], v[4:5]
	v_accvgpr_read_b32 v113, a19
	v_pk_add_f32 v[2:3], v[118:119], v[2:3]
	v_pk_add_f32 v[4:5], v[112:113], v[4:5]
	v_accvgpr_read_b32 v131, a21
	v_mov_b32_e32 v125, v225
	v_pk_add_f32 v[2:3], v[144:145], v[2:3]
	v_pk_add_f32 v[4:5], v[130:131], v[4:5]
	v_mov_b32_e32 v137, v231
	ds_write2_b64 v20, v[2:3], v[4:5] offset0:2 offset1:3
	v_pk_add_f32 v[2:3], v[122:123], v[0:1]
	v_pk_add_f32 v[4:5], v[124:125], v[0:1]
	v_mov_b32_e32 v141, v239
	v_mov_b32_e32 v139, v215
	v_pk_add_f32 v[2:3], v[132:133], v[2:3]
	v_pk_add_f32 v[4:5], v[136:137], v[4:5]
	v_mov_b32_e32 v147, v245
	v_mov_b32_e32 v151, v237
	v_pk_add_f32 v[2:3], v[138:139], v[2:3]
	v_pk_add_f32 v[4:5], v[140:141], v[4:5]
	v_mov_b32_e32 v149, v251
	v_pk_add_f32 v[2:3], v[150:151], v[2:3]
	v_accvgpr_read_b32 v163, a23
	v_pk_add_f32 v[4:5], v[146:147], v[4:5]
	v_pk_add_f32 v[2:3], v[162:163], v[2:3]
	v_accvgpr_read_b32 v167, a27
	v_mov_b32_e32 v181, v161
	v_pk_add_f32 v[4:5], v[148:149], v[4:5]
	v_accvgpr_read_b32 v161, a25
	v_pk_add_f32 v[2:3], v[166:167], v[2:3]
	v_mov_b32_e32 v189, v171
	v_pk_add_f32 v[4:5], v[160:161], v[4:5]
	v_accvgpr_read_b32 v171, a29
	v_pk_add_f32 v[2:3], v[180:181], v[2:3]
	v_pk_add_f32 v[4:5], v[170:171], v[4:5]
	v_accvgpr_read_b32 v177, a31
	v_mov_b32_e32 v193, v69
	v_mov_b32_e32 v173, v255
	v_pk_add_f32 v[2:3], v[188:189], v[2:3]
	v_pk_add_f32 v[4:5], v[176:177], v[4:5]
	v_mov_b32_e32 v253, v87
	v_mov_b32_e32 v197, v73
	;; [unrolled: 1-line block ×3, first 2 shown]
	ds_write2_b64 v20, v[2:3], v[4:5] offset0:4 offset1:5
	v_pk_add_f32 v[2:3], v[172:173], v[0:1]
	v_pk_add_f32 v[4:5], v[192:193], v[0:1]
	v_pk_add_f32 v[0:1], v[252:253], v[0:1]
	v_mov_b32_e32 v89, v91
	v_mov_b32_e32 v203, v75
	v_mov_b32_e32 v185, v53
	v_pk_add_f32 v[2:3], v[182:183], v[2:3]
	v_pk_add_f32 v[4:5], v[196:197], v[4:5]
	v_pk_add_f32 v[0:1], v[88:89], v[0:1]
	v_mov_b32_e32 v115, v121
	v_mov_b32_e32 v205, v81
	v_mov_b32_e32 v191, v107
	;; [unrolled: 6-line block ×4, first 2 shown]
	v_pk_add_f32 v[2:3], v[194:195], v[2:3]
	v_pk_add_f32 v[4:5], v[206:207], v[4:5]
	;; [unrolled: 1-line block ×3, first 2 shown]
	v_mov_b32_e32 v199, v201
	v_mov_b32_e32 v219, v187
	v_pk_add_f32 v[2:3], v[216:217], v[2:3]
	v_mov_b32_e32 v223, v221
	v_pk_add_f32 v[4:5], v[212:213], v[4:5]
	v_pk_add_f32 v[0:1], v[198:199], v[0:1]
	v_mov_b32_e32 v241, v243
	v_pk_add_f32 v[2:3], v[222:223], v[2:3]
	v_mov_b32_e32 v235, v233
	;; [unrolled: 2-line block ×4, first 2 shown]
	v_pk_add_f32 v[2:3], v[234:235], v[2:3]
	v_pk_add_f32 v[4:5], v[228:229], v[4:5]
	;; [unrolled: 1-line block ×3, first 2 shown]
	ds_write2_b64 v20, v[2:3], v[4:5] offset0:6 offset1:7
	ds_write2_b64 v20, v[0:1], v[54:55] offset0:8 offset1:9
	;; [unrolled: 1-line block ×5, first 2 shown]
	ds_write_b64 v20, a[4:5] offset:128
.LBB0_7:
	s_or_b64 exec, exec, s[0:1]
	s_movk_i32 s0, 0xf1
	v_mul_lo_u16_sdwa v0, v208, s0 dst_sel:DWORD dst_unused:UNUSED_PAD src0_sel:BYTE_0 src1_sel:DWORD
	v_lshrrev_b16_e32 v47, 12, v0
	v_mul_lo_u16_e32 v0, 17, v47
	v_sub_u16_e32 v0, v208, v0
	v_and_b32_e32 v49, 0xff, v0
	v_lshlrev_b32_e32 v20, 6, v49
	s_load_dwordx4 s[8:11], s[2:3], 0x0
	s_waitcnt lgkmcnt(0)
	s_barrier
	global_load_dwordx4 v[12:15], v20, s[6:7]
	global_load_dwordx4 v[8:11], v20, s[6:7] offset:16
	global_load_dwordx4 v[4:7], v20, s[6:7] offset:32
	;; [unrolled: 1-line block ×3, first 2 shown]
	v_add_u32_e32 v61, 0x400, v60
	v_add_u32_e32 v46, 0x800, v60
	;; [unrolled: 1-line block ×3, first 2 shown]
	ds_read2_b64 v[20:23], v60 offset1:102
	ds_read2_b64 v[24:27], v61 offset0:76 offset1:178
	ds_read_b64 v[44:45], v60 offset:6528
	ds_read2_b64 v[28:31], v46 offset0:152 offset1:254
	ds_read2_b64 v[40:43], v79 offset0:100 offset1:202
	v_mul_u32_u24_e32 v51, 0x99, v47
	s_waitcnt lgkmcnt(3)
	v_mov_b32_e32 v48, v25
	v_add_lshl_u32 v192, v51, v49, 3
	s_waitcnt lgkmcnt(1)
	v_mov_b32_e32 v47, v30
	s_waitcnt lgkmcnt(0)
	v_mov_b32_e32 v58, v43
	v_mov_b32_e32 v50, v27
	;; [unrolled: 1-line block ×3, first 2 shown]
	s_mov_b32 s2, 0x3f248dbb
	s_mov_b32 s3, 0x3f7c1c5c
	;; [unrolled: 1-line block ×4, first 2 shown]
	v_mov_b32_e32 v52, v29
	s_mov_b32 s0, 0x3f5db3d7
	s_mov_b32 s20, 0x3eaf1d44
	s_mov_b32 s22, 0x3f708fb2
	s_mov_b32 s18, s3
	s_barrier
	s_waitcnt vmcnt(3)
	v_pk_mul_f32 v[62:63], v[24:25], v[14:15]
	s_nop 0
	v_mov_b32_e32 v62, v15
	s_waitcnt vmcnt(1)
	v_mov_b32_e32 v49, v4
	v_pk_mul_f32 v[70:71], v[46:47], v[4:5]
	v_pk_mul_f32 v[72:73], v[40:41], v[6:7]
	;; [unrolled: 1-line block ×4, first 2 shown]
	s_waitcnt vmcnt(0)
	v_pk_mul_f32 v[74:75], v[42:43], v[0:1]
	v_mov_b32_e32 v70, v1
	v_mov_b32_e32 v72, v3
	v_pk_mul_f32 v[84:85], v[30:31], v[48:49]
	v_mov_b32_e32 v64, v9
	v_mov_b32_e32 v68, v7
	v_pk_mul_f32 v[76:77], v[22:23], v[12:13] op_sel:[0,1]
	v_mov_b32_e32 v74, v63
	v_pk_mul_f32 v[62:63], v[24:25], v[62:63]
	v_mov_b32_e32 v84, v73
	v_pk_mul_f32 v[88:89], v[42:43], v[70:71]
	v_pk_mul_f32 v[72:73], v[44:45], v[72:73] op_sel_hi:[1,0]
	v_mov_b32_e32 v78, v65
	v_pk_mul_f32 v[64:65], v[26:27], v[64:65]
	v_mov_b32_e32 v82, v69
	v_pk_mul_f32 v[68:69], v[40:41], v[68:69]
	v_mov_b32_e32 v86, v75
	v_pk_fma_f32 v[90:91], v[22:23], v[12:13], v[76:77] op_sel:[0,0,1] op_sel_hi:[1,1,0] neg_lo:[0,0,1] neg_hi:[0,0,1]
	v_pk_fma_f32 v[48:49], v[48:49], v[14:15], v[62:63]
	v_pk_fma_f32 v[58:59], v[58:59], v[0:1], v[88:89]
	v_pk_fma_f32 v[62:63], v[44:45], v[2:3], v[72:73] op_sel:[0,0,1] op_sel_hi:[1,1,0] neg_lo:[0,0,1] neg_hi:[0,0,1]
	v_pk_fma_f32 v[22:23], v[22:23], v[12:13], v[76:77] op_sel:[0,0,1] op_sel_hi:[1,0,0]
	v_pk_fma_f32 v[24:25], v[24:25], v[14:15], v[74:75] neg_lo:[0,0,1] neg_hi:[0,0,1]
	v_pk_fma_f32 v[26:27], v[26:27], v[8:9], v[78:79] neg_lo:[0,0,1] neg_hi:[0,0,1]
	v_pk_fma_f32 v[50:51], v[50:51], v[8:9], v[64:65]
	v_pk_fma_f32 v[40:41], v[40:41], v[6:7], v[84:85] neg_lo:[0,0,1] neg_hi:[0,0,1]
	v_pk_fma_f32 v[56:57], v[56:57], v[6:7], v[68:69]
	v_pk_fma_f32 v[42:43], v[42:43], v[0:1], v[86:87] neg_lo:[0,0,1] neg_hi:[0,0,1]
	v_pk_fma_f32 v[44:45], v[44:45], v[2:3], v[72:73] op_sel:[0,0,1] op_sel_hi:[1,0,0]
	v_mov_b32_e32 v49, v90
	v_mov_b32_e32 v59, v62
	;; [unrolled: 1-line block ×12, first 2 shown]
	v_pk_add_f32 v[48:49], v[48:49], v[58:59] neg_lo:[0,1] neg_hi:[0,1]
	v_pk_mul_f32 v[66:67], v[28:29], v[10:11]
	v_pk_add_f32 v[50:51], v[90:91], v[62:63]
	v_pk_add_f32 v[24:25], v[24:25], v[42:43]
	;; [unrolled: 1-line block ×3, first 2 shown]
	v_pk_add_f32 v[22:23], v[22:23], v[44:45] neg_lo:[0,1] neg_hi:[0,1]
	v_pk_add_f32 v[26:27], v[26:27], v[40:41] neg_lo:[0,1] neg_hi:[0,1]
	v_pk_mul_f32 v[40:41], v[48:49], s[16:17]
	v_mov_b32_e32 v66, v11
	v_mov_b32_e32 v80, v67
	v_pk_fma_f32 v[40:41], v[22:23], s[2:3], v[40:41]
	v_mov_b32_e32 v56, v22
	v_mov_b32_e32 v57, v49
	;; [unrolled: 1-line block ×3, first 2 shown]
	v_pk_add_f32 v[22:23], v[24:25], v[50:51]
	v_pk_mul_f32 v[52:53], v[52:53], v[10:11]
	v_pk_mul_f32 v[66:67], v[28:29], v[66:67]
	v_pk_fma_f32 v[28:29], v[28:29], v[10:11], v[80:81] neg_lo:[0,0,1] neg_hi:[0,0,1]
	v_pk_add_f32 v[58:59], v[42:43], v[22:23]
	v_mov_b32_e32 v29, v85
	v_mov_b32_e32 v59, v71
	;; [unrolled: 1-line block ×4, first 2 shown]
	v_pk_fma_f32 v[30:31], v[30:31], v[4:5], v[82:83] neg_lo:[0,0,1] neg_hi:[0,0,1]
	s_mov_b32 s2, 0x3f441b7d
	v_pk_add_f32 v[58:59], v[28:29], v[58:59]
	v_pk_add_f32 v[52:53], v[52:53], v[66:67]
	s_mov_b32 s16, 0x3e31d0d4
	v_pk_fma_f32 v[44:45], v[50:51], s[2:3], v[20:21] op_sel_hi:[1,0,1]
	v_mov_b32_e32 v31, v59
	v_mov_b32_e32 v29, v52
	v_pk_mul_f32 v[26:27], v[26:27], s[0:1] op_sel_hi:[1,0]
	v_pk_fma_f32 v[44:45], v[24:25], s[16:17], v[44:45] op_sel_hi:[1,0,1]
	v_mov_b32_e32 v62, v59
	v_mov_b32_e32 v63, v30
	;; [unrolled: 1-line block ×4, first 2 shown]
	v_pk_add_f32 v[28:29], v[28:29], v[30:31]
	v_mov_b32_e32 v31, v52
	v_pk_add_f32 v[40:41], v[26:27], v[40:41] op_sel:[1,0] op_sel_hi:[0,1]
	v_pk_fma_f32 v[44:45], v[42:43], 0.5, v[44:45] op_sel_hi:[1,0,1] neg_lo:[1,0,0] neg_hi:[1,0,0]
	v_pk_add_f32 v[62:63], v[64:65], v[62:63] neg_lo:[0,1] neg_hi:[0,1]
	v_pk_add_f32 v[52:53], v[30:31], v[52:53]
	v_pk_fma_f32 v[40:41], v[62:63], s[20:21], v[40:41] op_sel_hi:[1,0,1]
	v_pk_add_f32 v[64:65], v[62:63], v[56:57]
	v_pk_fma_f32 v[44:45], v[28:29], s[22:23], v[44:45] op_sel_hi:[1,0,1] neg_lo:[1,0,0] neg_hi:[1,0,0]
	v_pk_add_f32 v[70:71], v[42:43], v[20:21]
	v_pk_add_f32 v[22:23], v[28:29], v[22:23]
	v_mov_b32_e32 v31, v53
	v_pk_add_f32 v[64:65], v[64:65], v[48:49] neg_lo:[0,1] neg_hi:[0,1]
	v_pk_add_f32 v[68:69], v[44:45], v[40:41]
	v_pk_add_f32 v[44:45], v[44:45], v[40:41] neg_lo:[0,1] neg_hi:[0,1]
	v_pk_fma_f32 v[22:23], v[22:23], 0.5, v[70:71] op_sel_hi:[1,0,1] neg_lo:[1,0,0] neg_hi:[1,0,0]
	v_pk_add_f32 v[30:31], v[30:31], v[58:59]
	v_pk_mul_f32 v[66:67], v[64:65], s[0:1] op_sel_hi:[1,0]
	v_pk_fma_f32 v[70:71], v[64:65], s[0:1], v[22:23] op_sel_hi:[1,0,1]
	v_pk_fma_f32 v[22:23], v[64:65], s[0:1], v[22:23] op_sel_hi:[1,0,1] neg_lo:[1,0,0] neg_hi:[1,0,0]
	v_pk_add_f32 v[30:31], v[30:31], v[20:21]
	v_mov_b32_e32 v69, v45
	s_mov_b32 s0, 0xbf248dbb
	v_fma_f32 v44, -2.0, v40, v68
	v_fma_f32 v65, 2.0, v67, v23
	v_fmac_f32_e32 v45, 2.0, v41
	ds_write2_b64 v192, v[30:31], v[68:69] offset1:17
	v_pk_mul_f32 v[30:31], v[62:63], s[0:1] op_sel_hi:[1,0]
	v_pk_fma_f32 v[40:41], v[28:29], s[2:3], v[20:21] op_sel_hi:[1,0,1]
	v_mov_b32_e32 v71, v23
	v_pk_fma_f32 v[20:21], v[24:25], s[2:3], v[20:21] op_sel_hi:[1,0,1]
	v_pk_mul_f32 v[22:23], v[62:63], s[18:19] op_sel_hi:[1,0]
	v_pk_fma_f32 v[30:31], v[56:57], s[18:19], v[30:31] op_sel_hi:[1,0,1]
	v_pk_fma_f32 v[40:41], v[50:51], s[16:17], v[40:41] op_sel_hi:[1,0,1]
	v_pk_fma_f32 v[22:23], v[48:49], s[0:1], v[22:23] op_sel_hi:[1,0,1] neg_lo:[0,0,1] neg_hi:[0,0,1]
	v_pk_fma_f32 v[20:21], v[28:29], s[16:17], v[20:21] op_sel_hi:[1,0,1]
	v_pk_add_f32 v[30:31], v[30:31], v[26:27] op_sel:[0,1] op_sel_hi:[1,0] neg_lo:[0,1] neg_hi:[0,1]
	v_pk_fma_f32 v[40:41], v[42:43], 0.5, v[40:41] op_sel_hi:[1,0,1] neg_lo:[1,0,0] neg_hi:[1,0,0]
	v_pk_add_f32 v[22:23], v[26:27], v[22:23] op_sel:[1,0] op_sel_hi:[0,1]
	v_pk_fma_f32 v[20:21], v[42:43], 0.5, v[20:21] op_sel_hi:[1,0,1] neg_lo:[1,0,0] neg_hi:[1,0,0]
	v_pk_fma_f32 v[30:31], v[48:49], s[20:21], v[30:31] op_sel_hi:[1,0,1]
	v_pk_fma_f32 v[40:41], v[24:25], s[22:23], v[40:41] op_sel_hi:[1,0,1] neg_lo:[1,0,0] neg_hi:[1,0,0]
	v_pk_fma_f32 v[22:23], v[56:57], s[20:21], v[22:23] op_sel_hi:[1,0,1]
	v_pk_fma_f32 v[20:21], v[50:51], s[22:23], v[20:21] op_sel_hi:[1,0,1] neg_lo:[1,0,0] neg_hi:[1,0,0]
	v_pk_add_f32 v[52:53], v[40:41], v[30:31]
	v_pk_add_f32 v[40:41], v[40:41], v[30:31] neg_lo:[0,1] neg_hi:[0,1]
	v_pk_add_f32 v[24:25], v[20:21], v[22:23]
	v_pk_add_f32 v[20:21], v[20:21], v[22:23] neg_lo:[0,1] neg_hi:[0,1]
	v_mov_b32_e32 v53, v41
	v_fma_f32 v20, -2.0, v22, v24
	v_mov_b32_e32 v25, v21
	v_fmac_f32_e32 v21, 2.0, v23
	v_fma_f32 v64, -2.0, v66, v70
	v_fma_f32 v40, -2.0, v30, v52
	v_fmac_f32_e32 v41, 2.0, v31
	ds_write2_b64 v192, v[52:53], v[70:71] offset0:34 offset1:51
	ds_write2_b64 v192, v[24:25], v[20:21] offset0:68 offset1:85
	;; [unrolled: 1-line block ×3, first 2 shown]
	ds_write_b64 v192, v[44:45] offset:1088
	v_add_u32_e32 v20, 0xc00, v60
	s_waitcnt lgkmcnt(0)
	s_barrier
	ds_read2_b64 v[24:27], v60 offset1:102
	ds_read2_b64 v[40:43], v20 offset0:75 offset1:177
	ds_read2_b64 v[20:23], v61 offset0:76 offset1:178
	;; [unrolled: 1-line block ×3, first 2 shown]
	v_cmp_gt_u16_e64 s[2:3], 51, v208
	s_and_saveexec_b64 s[0:1], s[2:3]
	s_cbranch_execz .LBB0_9
; %bb.8:
	ds_read_b64 v[44:45], v60 offset:3264
	ds_read_b64 v[54:55], v60 offset:6936
.LBB0_9:
	s_or_b64 exec, exec, s[0:1]
	s_mov_b64 s[0:1], 0x66
	v_lshl_add_u64 v[48:49], v[208:209], 0, s[0:1]
	s_movk_i32 s0, 0xffcd
	s_mov_b32 s1, -1
	v_lshl_add_u64 v[50:51], v[208:209], 0, s[0:1]
	v_cndmask_b32_e64 v53, v51, v49, s[2:3]
	v_cndmask_b32_e64 v52, v50, v48, s[2:3]
	v_add_u32_e32 v47, 0x132, v208
	v_add_u32_e32 v56, 0x198, v208
	v_lshl_add_u64 v[50:51], v[52:53], 3, s[6:7]
	s_movk_i32 s0, 0x358b
	global_load_dwordx2 v[68:69], v60, s[6:7] offset:1088
	global_load_dwordx2 v[70:71], v60, s[6:7] offset:1496
	global_load_dwordx2 v[72:73], v[50:51], off offset:1088
	v_mul_u32_u24_sdwa v49, v47, s0 dst_sel:DWORD dst_unused:UNUSED_PAD src0_sel:WORD_0 src1_sel:DWORD
	v_mul_u32_u24_sdwa v50, v56, s0 dst_sel:DWORD dst_unused:UNUSED_PAD src0_sel:WORD_0 src1_sel:DWORD
	v_lshrrev_b32_e32 v49, 21, v49
	v_lshrrev_b32_e32 v50, 21, v50
	v_mul_lo_u16_e32 v49, 0x99, v49
	v_mul_lo_u16_e32 v50, 0x99, v50
	v_sub_u16_e32 v50, v56, v50
	v_sub_u16_e32 v47, v47, v49
	v_lshlrev_b32_e32 v144, 3, v50
	v_lshlrev_b32_e32 v193, 3, v47
	global_load_dwordx2 v[66:67], v144, s[6:7] offset:1088
	global_load_dwordx2 v[74:75], v193, s[6:7] offset:1088
	v_mov_b32_e32 v47, 0x132
	v_cmp_lt_u16_e32 vcc, 50, v208
	s_waitcnt lgkmcnt(0)
	s_barrier
	v_cndmask_b32_e32 v47, 0, v47, vcc
	v_add_lshl_u32 v145, v52, v47, 3
	v_mov_b32_e32 v56, v55
	v_mov_b32_e32 v61, 0
	v_lshl_add_u64 v[50:51], s[6:7], 0, v[60:61]
	s_waitcnt vmcnt(4)
	v_pk_mul_f32 v[52:53], v[40:41], v[68:69] op_sel:[0,1]
	s_waitcnt vmcnt(3)
	v_pk_mul_f32 v[58:59], v[28:29], v[70:71] op_sel:[0,1]
	v_pk_fma_f32 v[62:63], v[40:41], v[68:69], v[52:53] op_sel:[0,0,1] op_sel_hi:[1,1,0] neg_lo:[0,0,1] neg_hi:[0,0,1]
	v_pk_fma_f32 v[40:41], v[40:41], v[68:69], v[52:53] op_sel:[0,0,1] op_sel_hi:[1,0,0]
	v_pk_fma_f32 v[52:53], v[28:29], v[70:71], v[58:59] op_sel:[0,0,1] op_sel_hi:[1,1,0] neg_lo:[0,0,1] neg_hi:[0,0,1]
	v_pk_fma_f32 v[28:29], v[28:29], v[70:71], v[58:59] op_sel:[0,0,1] op_sel_hi:[1,0,0]
	v_mov_b32_e32 v63, v41
	v_mov_b32_e32 v53, v29
	v_pk_add_f32 v[28:29], v[24:25], v[62:63] neg_lo:[0,1] neg_hi:[0,1]
	v_pk_add_f32 v[40:41], v[20:21], v[52:53] neg_lo:[0,1] neg_hi:[0,1]
	v_pk_fma_f32 v[24:25], v[24:25], 2.0, v[28:29] op_sel_hi:[1,0,1] neg_lo:[0,0,1] neg_hi:[0,0,1]
	s_waitcnt vmcnt(2)
	v_pk_mul_f32 v[52:53], v[42:43], v[72:73] op_sel:[0,1]
	ds_write2_b64 v60, v[24:25], v[28:29] offset1:153
	v_pk_fma_f32 v[24:25], v[42:43], v[72:73], v[52:53] op_sel:[0,0,1] op_sel_hi:[1,1,0] neg_lo:[0,0,1] neg_hi:[0,0,1]
	v_pk_fma_f32 v[28:29], v[42:43], v[72:73], v[52:53] op_sel:[0,0,1] op_sel_hi:[1,0,0]
	s_waitcnt vmcnt(1)
	v_pk_mul_f32 v[42:43], v[54:55], v[66:67]
	v_mov_b32_e32 v28, v67
	v_mov_b32_e32 v25, v29
	s_waitcnt vmcnt(0)
	v_pk_mul_f32 v[52:53], v[30:31], v[74:75] op_sel:[0,1]
	v_mov_b32_e32 v42, v43
	v_pk_mul_f32 v[28:29], v[54:55], v[28:29]
	v_pk_add_f32 v[24:25], v[26:27], v[24:25] neg_lo:[0,1] neg_hi:[0,1]
	v_pk_fma_f32 v[58:59], v[30:31], v[74:75], v[52:53] op_sel:[0,0,1] op_sel_hi:[1,1,0] neg_lo:[0,0,1] neg_hi:[0,0,1]
	v_pk_fma_f32 v[30:31], v[30:31], v[74:75], v[52:53] op_sel:[0,0,1] op_sel_hi:[1,0,0]
	v_pk_fma_f32 v[20:21], v[20:21], 2.0, v[40:41] op_sel_hi:[1,0,1] neg_lo:[0,0,1] neg_hi:[0,0,1]
	v_pk_fma_f32 v[42:43], v[54:55], v[66:67], v[42:43] neg_lo:[0,0,1] neg_hi:[0,0,1]
	v_pk_fma_f32 v[28:29], v[56:57], v[66:67], v[28:29]
	v_pk_fma_f32 v[26:27], v[26:27], 2.0, v[24:25] op_sel_hi:[1,0,1] neg_lo:[0,0,1] neg_hi:[0,0,1]
	v_mov_b32_e32 v59, v31
	v_mov_b32_e32 v43, v28
	ds_write2_b64 v145, v[26:27], v[24:25] offset1:153
	ds_write2_b64 v46, v[20:21], v[40:41] offset0:101 offset1:254
	v_pk_add_f32 v[20:21], v[22:23], v[58:59] neg_lo:[0,1] neg_hi:[0,1]
	v_pk_add_f32 v[46:47], v[44:45], v[42:43] neg_lo:[0,1] neg_hi:[0,1]
	v_pk_fma_f32 v[22:23], v[22:23], 2.0, v[20:21] op_sel_hi:[1,0,1] neg_lo:[0,0,1] neg_hi:[0,0,1]
	v_add_u32_e32 v24, 0x1000, v193
	ds_write2_b64 v24, v[22:23], v[20:21] offset0:100 offset1:253
	s_mov_b64 s[0:1], exec
	v_accvgpr_read_b32 v149, a5
	s_and_b64 s[16:17], s[0:1], s[2:3]
	v_accvgpr_read_b32 v148, a4
	s_mov_b64 exec, s[16:17]
	s_cbranch_execz .LBB0_11
; %bb.10:
	v_pk_fma_f32 v[20:21], v[44:45], 2.0, v[46:47] op_sel_hi:[1,0,1] neg_lo:[0,0,1] neg_hi:[0,0,1]
	v_add_u32_e32 v22, 0x1000, v144
	ds_write2_b64 v22, v[20:21], v[46:47] offset0:100 offset1:253
.LBB0_11:
	s_or_b64 exec, exec, s[0:1]
	v_lshl_add_u64 v[20:21], v[50:51], 0, v[60:61]
	s_waitcnt lgkmcnt(0)
	s_barrier
	global_load_dwordx4 v[28:31], v[20:21], off offset:2312
	v_lshlrev_b32_e32 v20, 4, v48
	global_load_dwordx4 v[24:27], v20, s[6:7] offset:2312
	v_mov_b32_e32 v20, 0xcc0
	v_lshl_add_u32 v20, v208, 4, v20
	global_load_dwordx4 v[20:23], v20, s[6:7] offset:2312
	v_add_u32_e32 v61, 0x400, v60
	v_add_u32_e32 v63, 0x800, v60
	ds_read2_b64 v[54:57], v61 offset0:76 offset1:178
	v_add_u32_e32 v62, 0x1000, v60
	ds_read2_b64 v[42:45], v60 offset1:102
	ds_read2_b64 v[48:51], v63 offset0:152 offset1:254
	ds_read_b64 v[40:41], v60 offset:6528
	ds_read2_b64 v[76:79], v62 offset0:100 offset1:202
	s_mov_b32 s0, 0x3f5db3d7
	s_waitcnt vmcnt(2) lgkmcnt(4)
	v_pk_mul_f32 v[52:53], v[56:57], v[28:29] op_sel:[0,1]
	v_mov_b32_e32 v58, v31
	s_waitcnt vmcnt(1) lgkmcnt(2)
	v_pk_mul_f32 v[64:65], v[48:49], v[24:25] op_sel:[0,1]
	v_mov_b32_e32 v80, v27
	v_pk_fma_f32 v[82:83], v[56:57], v[28:29], v[52:53] op_sel:[0,0,1] op_sel_hi:[1,1,0] neg_lo:[0,0,1] neg_hi:[0,0,1]
	v_pk_fma_f32 v[52:53], v[56:57], v[28:29], v[52:53] op_sel:[0,0,1] op_sel_hi:[1,0,0]
	s_waitcnt lgkmcnt(0)
	v_pk_mul_f32 v[56:57], v[76:77], v[58:59] op_sel_hi:[1,0]
	v_pk_fma_f32 v[58:59], v[48:49], v[24:25], v[64:65] op_sel:[0,0,1] op_sel_hi:[1,1,0] neg_lo:[0,0,1] neg_hi:[0,0,1]
	v_pk_fma_f32 v[48:49], v[48:49], v[24:25], v[64:65] op_sel:[0,0,1] op_sel_hi:[1,0,0]
	v_pk_mul_f32 v[64:65], v[78:79], v[80:81] op_sel_hi:[1,0]
	s_waitcnt vmcnt(0)
	v_mov_b32_e32 v48, v23
	v_pk_mul_f32 v[80:81], v[50:51], v[20:21] op_sel:[0,1]
	v_mov_b32_e32 v83, v53
	v_pk_fma_f32 v[52:53], v[76:77], v[30:31], v[56:57] op_sel:[0,0,1] op_sel_hi:[1,1,0] neg_lo:[0,0,1] neg_hi:[0,0,1]
	v_pk_fma_f32 v[56:57], v[76:77], v[30:31], v[56:57] op_sel:[0,0,1] op_sel_hi:[1,0,0]
	v_mov_b32_e32 v59, v49
	v_pk_fma_f32 v[76:77], v[78:79], v[26:27], v[64:65] op_sel:[0,0,1] op_sel_hi:[1,1,0] neg_lo:[0,0,1] neg_hi:[0,0,1]
	v_pk_fma_f32 v[64:65], v[78:79], v[26:27], v[64:65] op_sel:[0,0,1] op_sel_hi:[1,0,0]
	v_pk_mul_f32 v[48:49], v[40:41], v[48:49] op_sel_hi:[1,0]
	v_pk_fma_f32 v[78:79], v[50:51], v[20:21], v[80:81] op_sel:[0,0,1] op_sel_hi:[1,1,0] neg_lo:[0,0,1] neg_hi:[0,0,1]
	v_pk_fma_f32 v[50:51], v[50:51], v[20:21], v[80:81] op_sel:[0,0,1] op_sel_hi:[1,0,0]
	v_mov_b32_e32 v77, v65
	v_pk_add_f32 v[64:65], v[44:45], v[58:59]
	v_pk_fma_f32 v[80:81], v[40:41], v[22:23], v[48:49] op_sel:[0,0,1] op_sel_hi:[1,1,0] neg_lo:[0,0,1] neg_hi:[0,0,1]
	v_pk_fma_f32 v[48:49], v[40:41], v[22:23], v[48:49] op_sel:[0,0,1] op_sel_hi:[1,0,0]
	v_mov_b32_e32 v53, v57
	v_pk_add_f32 v[56:57], v[42:43], v[82:83]
	v_mov_b32_e32 v79, v51
	v_pk_add_f32 v[50:51], v[64:65], v[76:77]
	v_pk_add_f32 v[64:65], v[58:59], v[76:77]
	v_pk_add_f32 v[58:59], v[58:59], v[76:77] neg_lo:[0,1] neg_hi:[0,1]
	v_mov_b32_e32 v81, v49
	v_pk_add_f32 v[40:41], v[56:57], v[52:53]
	v_pk_add_f32 v[56:57], v[82:83], v[52:53]
	v_pk_add_f32 v[52:53], v[82:83], v[52:53] neg_lo:[0,1] neg_hi:[0,1]
	v_pk_add_f32 v[48:49], v[54:55], v[78:79]
	v_pk_fma_f32 v[44:45], v[64:65], 0.5, v[44:45] op_sel_hi:[1,0,1] neg_lo:[1,0,0] neg_hi:[1,0,0]
	v_pk_mul_f32 v[58:59], v[58:59], s[0:1] op_sel_hi:[1,0]
	v_pk_add_f32 v[64:65], v[78:79], v[80:81]
	v_pk_add_f32 v[76:77], v[78:79], v[80:81] neg_lo:[0,1] neg_hi:[0,1]
	v_pk_fma_f32 v[42:43], v[56:57], 0.5, v[42:43] op_sel_hi:[1,0,1] neg_lo:[1,0,0] neg_hi:[1,0,0]
	v_pk_mul_f32 v[56:57], v[52:53], s[0:1] op_sel_hi:[1,0]
	v_pk_add_f32 v[52:53], v[48:49], v[80:81]
	v_pk_add_f32 v[80:81], v[44:45], v[58:59] op_sel:[0,1] op_sel_hi:[1,0]
	v_pk_add_f32 v[58:59], v[44:45], v[58:59] op_sel:[0,1] op_sel_hi:[1,0] neg_lo:[0,1] neg_hi:[0,1]
	v_pk_fma_f32 v[44:45], v[64:65], 0.5, v[54:55] op_sel_hi:[1,0,1] neg_lo:[1,0,0] neg_hi:[1,0,0]
	v_pk_mul_f32 v[54:55], v[76:77], s[0:1] op_sel_hi:[1,0]
	v_pk_add_f32 v[78:79], v[42:43], v[56:57] op_sel:[0,1] op_sel_hi:[1,0]
	v_pk_add_f32 v[48:49], v[42:43], v[56:57] op_sel:[0,1] op_sel_hi:[1,0] neg_lo:[0,1] neg_hi:[0,1]
	v_pk_add_f32 v[64:65], v[44:45], v[54:55] op_sel:[0,1] op_sel_hi:[1,0]
	v_pk_add_f32 v[44:45], v[44:45], v[54:55] op_sel:[0,1] op_sel_hi:[1,0] neg_lo:[0,1] neg_hi:[0,1]
	v_mov_b32_e32 v42, v78
	v_mov_b32_e32 v43, v49
	;; [unrolled: 1-line block ×9, first 2 shown]
	ds_write2_b64 v60, v[40:41], v[50:51] offset1:102
	ds_write2_b64 v62, v[48:49], v[58:59] offset0:100 offset1:202
	ds_write2_b64 v61, v[52:53], v[42:43] offset0:76 offset1:178
	ds_write2_b64 v63, v[56:57], v[54:55] offset0:152 offset1:254
	ds_write_b64 v60, v[44:45] offset:6528
	s_waitcnt lgkmcnt(0)
	s_barrier
	s_and_saveexec_b64 s[0:1], s[4:5]
	s_cbranch_execz .LBB0_13
; %bb.12:
	v_mov_b32_e32 v61, 0
	v_lshl_add_u64 v[64:65], s[12:13], 0, v[60:61]
	v_add_co_u32_e32 v76, vcc, 0x1000, v64
	s_mov_b64 s[6:7], 0x1cb0
	s_nop 0
	v_addc_co_u32_e32 v77, vcc, 0, v65, vcc
	global_load_dwordx2 v[76:77], v[76:77], off offset:3248
	v_lshl_add_u64 v[78:79], v[64:65], 0, s[6:7]
	s_movk_i32 s6, 0x2000
	global_load_dwordx2 v[92:93], v[78:79], off offset:432
	global_load_dwordx2 v[104:105], v[78:79], off offset:864
	v_add_co_u32_e32 v80, vcc, s6, v64
	global_load_dwordx2 v[106:107], v[78:79], off offset:1296
	global_load_dwordx2 v[108:109], v[78:79], off offset:1728
	;; [unrolled: 1-line block ×4, first 2 shown]
	v_addc_co_u32_e32 v81, vcc, 0, v65, vcc
	global_load_dwordx2 v[116:117], v[78:79], off offset:3024
	global_load_dwordx2 v[118:119], v[78:79], off offset:3456
	;; [unrolled: 1-line block ×5, first 2 shown]
	s_movk_i32 s6, 0x3000
	v_add_co_u32_e32 v64, vcc, s6, v64
	v_add_u32_e32 v61, 0xc00, v60
	s_nop 0
	v_addc_co_u32_e32 v65, vcc, 0, v65, vcc
	global_load_dwordx2 v[126:127], v[64:65], off offset:240
	global_load_dwordx2 v[128:129], v[64:65], off offset:672
	;; [unrolled: 1-line block ×4, first 2 shown]
	ds_read_b64 v[78:79], v60
	global_load_dwordx2 v[64:65], v[64:65], off offset:1968
	s_waitcnt vmcnt(16) lgkmcnt(0)
	v_mul_f32_e32 v80, v79, v77
	v_mul_f32_e32 v81, v78, v77
	v_fma_f32 v80, v78, v76, -v80
	v_fmac_f32_e32 v81, v79, v76
	ds_write_b64 v60, v[80:81]
	ds_read2_b64 v[76:79], v60 offset0:54 offset1:108
	ds_read2_b64 v[80:83], v60 offset0:162 offset1:216
	;; [unrolled: 1-line block ×6, first 2 shown]
	s_waitcnt vmcnt(15) lgkmcnt(5)
	v_mul_f32_e32 v95, v77, v93
	v_mul_f32_e32 v135, v76, v93
	s_waitcnt vmcnt(14)
	v_mul_f32_e32 v114, v79, v105
	v_mul_f32_e32 v93, v78, v105
	s_waitcnt vmcnt(13) lgkmcnt(4)
	v_mul_f32_e32 v115, v81, v107
	v_mul_f32_e32 v105, v80, v107
	s_waitcnt vmcnt(12)
	v_mul_f32_e32 v136, v83, v109
	v_mul_f32_e32 v107, v82, v109
	;; [unrolled: 6-line block ×4, first 2 shown]
	s_waitcnt vmcnt(5) lgkmcnt(1)
	v_mul_f32_e32 v141, v97, v125
	v_mul_f32_e32 v119, v96, v125
	;; [unrolled: 1-line block ×4, first 2 shown]
	v_fma_f32 v134, v76, v92, -v95
	v_fmac_f32_e32 v135, v77, v92
	v_fma_f32 v92, v78, v104, -v114
	v_fmac_f32_e32 v93, v79, v104
	;; [unrolled: 2-line block ×10, first 2 shown]
	ds_write2_b64 v60, v[134:135], v[92:93] offset0:54 offset1:108
	ds_write2_b64 v60, v[104:105], v[106:107] offset0:162 offset1:216
	;; [unrolled: 1-line block ×5, first 2 shown]
	s_waitcnt lgkmcnt(5)
	v_mul_f32_e32 v61, v101, v123
	v_fma_f32 v80, v100, v122, -v61
	v_mul_f32_e32 v81, v100, v123
	s_waitcnt vmcnt(4)
	v_mul_f32_e32 v61, v103, v127
	ds_read2_b64 v[76:79], v62 offset0:190 offset1:244
	v_mul_f32_e32 v83, v102, v127
	v_fmac_f32_e32 v81, v101, v122
	v_fma_f32 v82, v102, v126, -v61
	v_fmac_f32_e32 v83, v103, v126
	v_add_u32_e32 v86, 0x1800, v60
	ds_write2_b64 v62, v[80:81], v[82:83] offset0:82 offset1:136
	ds_read2_b64 v[80:83], v86 offset0:42 offset1:96
	s_waitcnt vmcnt(3) lgkmcnt(2)
	v_mul_f32_e32 v61, v77, v129
	v_mul_f32_e32 v85, v76, v129
	v_fma_f32 v84, v76, v128, -v61
	v_fmac_f32_e32 v85, v77, v128
	s_waitcnt vmcnt(2)
	v_mul_f32_e32 v61, v79, v131
	v_mul_f32_e32 v77, v78, v131
	v_fma_f32 v76, v78, v130, -v61
	v_fmac_f32_e32 v77, v79, v130
	s_waitcnt vmcnt(1) lgkmcnt(0)
	v_mul_f32_e32 v61, v81, v133
	ds_write2_b64 v62, v[84:85], v[76:77] offset0:190 offset1:244
	v_fma_f32 v62, v80, v132, -v61
	v_mul_f32_e32 v63, v80, v133
	s_waitcnt vmcnt(0)
	v_mul_f32_e32 v61, v83, v65
	v_mul_f32_e32 v77, v82, v65
	v_fmac_f32_e32 v63, v81, v132
	v_fma_f32 v76, v82, v64, -v61
	v_fmac_f32_e32 v77, v83, v64
	ds_write2_b64 v86, v[62:63], v[76:77] offset0:42 offset1:96
.LBB0_13:
	s_or_b64 exec, exec, s[0:1]
	s_waitcnt lgkmcnt(0)
	s_barrier
	s_and_saveexec_b64 s[0:1], s[4:5]
	s_cbranch_execz .LBB0_15
; %bb.14:
	v_add_u32_e32 v16, 0x400, v60
	ds_read2_b64 v[40:43], v60 offset1:54
	ds_read2_b64 v[48:51], v60 offset0:108 offset1:162
	ds_read2_b64 v[56:59], v16 offset0:88 offset1:142
	v_add_u32_e32 v16, 0x800, v60
	ds_read2_b64 v[52:55], v16 offset0:68 offset1:122
	ds_read2_b64 v[44:47], v16 offset0:176 offset1:230
	v_add_u32_e32 v16, 0x1000, v60
	;; [unrolled: 3-line block ×3, first 2 shown]
	ds_read2_b64 v[16:19], v16 offset0:116 offset1:170
	ds_read_b64 v[148:149], v60 offset:6912
.LBB0_15:
	s_or_b64 exec, exec, s[0:1]
	s_waitcnt lgkmcnt(1)
	v_pk_add_f32 v[62:63], v[48:49], v[18:19] neg_lo:[0,1] neg_hi:[0,1]
	v_pk_add_f32 v[132:133], v[48:49], v[18:19]
	v_mov_b32_e32 v81, v62
	v_mov_b32_e32 v80, v132
	v_mov_b32_e32 v132, v63
	v_pk_add_f32 v[62:63], v[50:51], v[16:17] neg_lo:[0,1] neg_hi:[0,1]
	v_pk_add_f32 v[130:131], v[50:51], v[16:17]
	v_mov_b32_e32 v83, v62
	v_mov_b32_e32 v82, v130
	v_mov_b32_e32 v130, v63
	;; [unrolled: 5-line block ×5, first 2 shown]
	v_pk_add_f32 v[62:63], v[54:55], v[36:37] neg_lo:[0,1] neg_hi:[0,1]
	v_pk_add_f32 v[122:123], v[54:55], v[36:37]
	s_waitcnt lgkmcnt(0)
	v_pk_add_f32 v[134:135], v[148:149], v[42:43]
	v_pk_add_f32 v[136:137], v[42:43], v[148:149] neg_lo:[0,1] neg_hi:[0,1]
	v_mov_b32_e32 v90, v122
	v_mov_b32_e32 v91, v62
	;; [unrolled: 1-line block ×3, first 2 shown]
	v_pk_add_f32 v[62:63], v[44:45], v[46:47] neg_lo:[0,1] neg_hi:[0,1]
	v_pk_add_f32 v[120:121], v[44:45], v[46:47]
	s_mov_b32 s42, 0xbe3c28d5
	v_mov_b32_e32 v92, v120
	v_mov_b32_e32 v93, v62
	;; [unrolled: 1-line block ×5, first 2 shown]
	s_mov_b32 s43, 0xbf7ba420
	s_mov_b32 s62, 0x3eb8f4ab
	v_pk_mul_f32 v[112:113], v[62:63], s[42:43]
	v_mov_b32_e32 v118, v134
	v_mov_b32_e32 v119, v136
	s_mov_b32 s0, s43
	s_mov_b32 s1, s42
	s_mov_b32 s63, 0x3f6eb680
	v_pk_fma_f32 v[62:63], v[118:119], s[0:1], v[112:113] neg_lo:[0,0,1] neg_hi:[0,0,1]
	v_pk_fma_f32 v[110:111], v[118:119], s[0:1], v[112:113]
	v_pk_mul_f32 v[142:143], v[132:133], s[62:63]
	s_mov_b32 s16, s63
	s_mov_b32 s17, s62
	;; [unrolled: 1-line block ×3, first 2 shown]
	v_mov_b32_e32 v63, v111
	v_pk_fma_f32 v[64:65], v[80:81], s[16:17], v[142:143] neg_lo:[0,0,1] neg_hi:[0,0,1]
	v_pk_fma_f32 v[146:147], v[80:81], s[16:17], v[142:143]
	s_mov_b32 s47, 0xbf59a7d5
	v_pk_add_f32 v[62:63], v[40:41], v[62:63]
	v_mov_b32_e32 v65, v147
	v_pk_mul_f32 v[154:155], v[130:131], s[46:47]
	s_mov_b32 s6, s47
	s_mov_b32 s7, s46
	s_mov_b32 s44, 0x3f2c7751
	v_pk_add_f32 v[62:63], v[64:65], v[62:63]
	v_pk_fma_f32 v[64:65], v[82:83], s[6:7], v[154:155] neg_lo:[0,0,1] neg_hi:[0,0,1]
	v_pk_fma_f32 v[156:157], v[82:83], s[6:7], v[154:155]
	s_mov_b32 s45, 0x3f3d2fb0
	v_mov_b32_e32 v65, v157
	v_pk_mul_f32 v[158:159], v[128:129], s[44:45]
	s_mov_b32 s26, s45
	s_mov_b32 s27, s44
	s_mov_b32 s58, 0xbf4c4adb
	v_pk_add_f32 v[62:63], v[64:65], v[62:63]
	v_pk_fma_f32 v[64:65], v[84:85], s[26:27], v[158:159] neg_lo:[0,0,1] neg_hi:[0,0,1]
	v_pk_fma_f32 v[160:161], v[84:85], s[26:27], v[158:159]
	s_mov_b32 s59, 0xbf1a4643
	;; [unrolled: 9-line block ×5, first 2 shown]
	v_mov_b32_e32 v65, v173
	v_pk_mul_f32 v[174:175], v[120:121], s[60:61]
	s_mov_b32 s36, s61
	s_mov_b32 s37, s60
	v_pk_add_f32 v[62:63], v[64:65], v[62:63]
	v_pk_fma_f32 v[64:65], v[92:93], s[36:37], v[174:175] neg_lo:[0,0,1] neg_hi:[0,0,1]
	v_pk_fma_f32 v[176:177], v[92:93], s[36:37], v[174:175]
	s_nop 0
	v_mov_b32_e32 v65, v177
	v_pk_add_f32 v[78:79], v[64:65], v[62:63]
	s_barrier
	s_and_saveexec_b64 s[22:23], s[4:5]
	s_cbranch_execz .LBB0_17
; %bb.16:
	v_pk_add_f32 v[42:43], v[42:43], v[40:41]
	s_mov_b32 s56, 0xbeb8f4ab
	v_pk_add_f32 v[42:43], v[48:49], v[42:43]
	s_mov_b32 s28, s63
	v_pk_add_f32 v[42:43], v[50:51], v[42:43]
	v_pk_mul_f32 v[62:63], v[136:137], s[56:57] op_sel_hi:[1,0]
	v_pk_add_f32 v[42:43], v[56:57], v[42:43]
	s_mov_b32 s67, s45
	v_pk_add_f32 v[42:43], v[58:59], v[42:43]
	s_mov_b32 s31, 0xbf65296c
	;; [unrolled: 2-line block ×9, first 2 shown]
	v_pk_add_f32 v[32:33], v[34:35], v[32:33]
	v_lshlrev_b32_e32 v61, 3, v94
	v_pk_add_f32 v[16:17], v[16:17], v[32:33]
	v_pk_fma_f32 v[32:33], v[134:135], s[28:29], v[62:63] op_sel:[0,0,1] op_sel_hi:[1,0,0]
	v_pk_add_f32 v[16:17], v[18:19], v[16:17]
	v_pk_fma_f32 v[18:19], v[134:135], s[28:29], v[62:63] op_sel:[0,0,1] op_sel_hi:[1,0,0] neg_lo:[0,0,1] neg_hi:[0,0,1]
	s_mov_b32 s29, 0xbf2c7751
	s_mov_b32 s66, s29
	;; [unrolled: 1-line block ×3, first 2 shown]
	v_pk_mul_f32 v[38:39], v[132:133], s[66:67]
	v_accvgpr_write_b32 a1, v33
	v_mov_b32_e32 v33, v19
	v_pk_fma_f32 v[36:37], v[80:81], s[28:29], v[38:39]
	v_pk_fma_f32 v[34:35], v[80:81], s[28:29], v[38:39] neg_lo:[1,0,0] neg_hi:[1,0,0]
	v_accvgpr_write_b32 a4, v38
	v_pk_add_f32 v[32:33], v[40:41], v[32:33]
	v_accvgpr_write_b32 a5, v39
	v_mov_b32_e32 v34, v36
	v_pk_mul_f32 v[38:39], v[130:131], s[68:69]
	v_accvgpr_write_b32 a3, v37
	v_pk_add_f32 v[32:33], v[34:35], v[32:33]
	v_pk_fma_f32 v[36:37], v[82:83], s[30:31], v[38:39]
	v_pk_fma_f32 v[34:35], v[82:83], s[30:31], v[38:39] neg_lo:[1,0,0] neg_hi:[1,0,0]
	v_accvgpr_write_b32 a8, v38
	v_accvgpr_write_b32 a9, v39
	v_mov_b32_e32 v34, v36
	v_pk_mul_f32 v[38:39], v[128:129], s[64:65]
	v_accvgpr_write_b32 a7, v37
	v_pk_add_f32 v[32:33], v[34:35], v[32:33]
	v_pk_fma_f32 v[36:37], v[84:85], s[34:35], v[38:39]
	v_pk_fma_f32 v[34:35], v[84:85], s[34:35], v[38:39] neg_lo:[1,0,0] neg_hi:[1,0,0]
	v_accvgpr_write_b32 a14, v38
	;; [unrolled: 8-line block ×5, first 2 shown]
	v_accvgpr_write_b32 a27, v39
	v_mov_b32_e32 v34, v36
	v_pk_mul_f32 v[38:39], v[120:121], s[42:43]
	v_accvgpr_write_b32 a21, v37
	v_pk_add_f32 v[32:33], v[34:35], v[32:33]
	v_pk_fma_f32 v[36:37], v[92:93], s[0:1], v[38:39]
	v_pk_fma_f32 v[34:35], v[92:93], s[0:1], v[38:39] neg_lo:[1,0,0] neg_hi:[1,0,0]
	v_pk_add_f32 v[16:17], v[148:149], v[16:17]
	v_mov_b32_e32 v34, v36
	v_pk_add_f32 v[32:33], v[34:35], v[32:33]
	s_mov_b32 s40, s29
	ds_write2_b64 v61, v[16:17], v[32:33] offset1:1
	s_mov_b32 s38, s45
	v_pk_mul_f32 v[16:17], v[136:137], s[40:41] op_sel_hi:[1,0]
	v_accvgpr_write_b32 a25, v37
	v_pk_fma_f32 v[32:33], v[134:135], s[38:39], v[16:17] op_sel:[0,0,1] op_sel_hi:[1,0,0]
	v_pk_fma_f32 v[96:97], v[134:135], s[38:39], v[16:17] op_sel:[0,0,1] op_sel_hi:[1,0,0] neg_lo:[0,0,1] neg_hi:[0,0,1]
	v_pk_mul_f32 v[36:37], v[132:133], s[64:65]
	v_mov_b32_e32 v16, v32
	v_accvgpr_write_b32 a31, v33
	v_mov_b32_e32 v17, v97
	v_pk_fma_f32 v[34:35], v[80:81], s[34:35], v[36:37]
	v_pk_fma_f32 v[32:33], v[80:81], s[34:35], v[36:37] neg_lo:[1,0,0] neg_hi:[1,0,0]
	v_accvgpr_write_b32 a36, v36
	v_pk_add_f32 v[16:17], v[40:41], v[16:17]
	v_accvgpr_write_b32 a37, v37
	v_mov_b32_e32 v32, v34
	v_pk_mul_f32 v[36:37], v[130:131], s[58:59]
	v_accvgpr_write_b32 a33, v35
	v_pk_add_f32 v[16:17], v[32:33], v[16:17]
	v_pk_fma_f32 v[34:35], v[82:83], s[18:19], v[36:37]
	v_pk_fma_f32 v[32:33], v[82:83], s[18:19], v[36:37] neg_lo:[1,0,0] neg_hi:[1,0,0]
	v_accvgpr_write_b32 a41, v37
	v_accvgpr_write_b32 a40, v36
	v_mov_b32_e32 v32, v34
	v_pk_mul_f32 v[36:37], v[128:129], s[42:43]
	s_mov_b32 s39, 0x3f06c442
	v_accvgpr_write_b32 a35, v35
	v_pk_add_f32 v[16:17], v[32:33], v[16:17]
	v_pk_fma_f32 v[34:35], v[84:85], s[0:1], v[36:37]
	v_pk_fma_f32 v[32:33], v[84:85], s[0:1], v[36:37] neg_lo:[1,0,0] neg_hi:[1,0,0]
	s_mov_b32 s72, s39
	s_mov_b32 s73, s47
	v_mov_b32_e32 v32, v34
	s_mov_b32 s38, s47
	v_pk_mul_f32 v[108:109], v[126:127], s[72:73]
	s_mov_b32 s41, 0x3f763a35
	v_accvgpr_write_b32 a39, v35
	v_pk_add_f32 v[16:17], v[32:33], v[16:17]
	v_pk_fma_f32 v[34:35], v[86:87], s[38:39], v[108:109]
	v_pk_fma_f32 v[32:33], v[86:87], s[38:39], v[108:109] neg_lo:[1,0,0] neg_hi:[1,0,0]
	s_mov_b32 s70, s41
	s_mov_b32 s71, s51
	v_mov_b32_e32 v32, v34
	s_mov_b32 s40, s51
	v_pk_mul_f32 v[104:105], v[124:125], s[70:71]
	v_accvgpr_write_b32 a45, v35
	v_pk_add_f32 v[16:17], v[32:33], v[16:17]
	v_pk_fma_f32 v[34:35], v[88:89], s[40:41], v[104:105]
	v_pk_fma_f32 v[32:33], v[88:89], s[40:41], v[104:105] neg_lo:[1,0,0] neg_hi:[1,0,0]
	v_pk_mul_f32 v[100:101], v[122:123], s[54:55]
	v_mov_b32_e32 v32, v34
	v_accvgpr_write_b32 a47, v35
	v_pk_add_f32 v[16:17], v[32:33], v[16:17]
	v_pk_fma_f32 v[34:35], v[90:91], s[24:25], v[100:101]
	v_pk_fma_f32 v[32:33], v[90:91], s[24:25], v[100:101] neg_lo:[1,0,0] neg_hi:[1,0,0]
	v_pk_mul_f32 v[76:77], v[120:121], s[62:63]
	v_mov_b32_e32 v32, v34
	v_accvgpr_write_b32 a49, v35
	v_pk_add_f32 v[16:17], v[32:33], v[16:17]
	v_pk_fma_f32 v[34:35], v[92:93], s[16:17], v[76:77]
	v_pk_fma_f32 v[32:33], v[92:93], s[16:17], v[76:77] neg_lo:[1,0,0] neg_hi:[1,0,0]
	s_mov_b32 s52, s31
	v_mov_b32_e32 v32, v34
	v_pk_add_f32 v[16:17], v[32:33], v[16:17]
	s_mov_b32 s48, s55
	v_pk_mul_f32 v[32:33], v[136:137], s[52:53] op_sel_hi:[1,0]
	v_accvgpr_write_b32 a51, v35
	v_pk_fma_f32 v[34:35], v[134:135], s[48:49], v[32:33] op_sel:[0,0,1] op_sel_hi:[1,0,0]
	v_pk_fma_f32 v[180:181], v[134:135], s[48:49], v[32:33] op_sel:[0,0,1] op_sel_hi:[1,0,0] neg_lo:[0,0,1] neg_hi:[0,0,1]
	v_pk_mul_f32 v[42:43], v[132:133], s[58:59]
	s_mov_b32 s49, 0x3e3c28d5
	v_accvgpr_write_b32 a28, v38
	v_mov_b32_e32 v32, v34
	v_mov_b32_e32 v97, v35
	;; [unrolled: 1-line block ×3, first 2 shown]
	v_pk_fma_f32 v[34:35], v[80:81], s[18:19], v[42:43]
	v_pk_fma_f32 v[62:63], v[80:81], s[18:19], v[42:43] neg_lo:[1,0,0] neg_hi:[1,0,0]
	s_mov_b32 s52, s49
	s_mov_b32 s53, s43
	v_accvgpr_write_b32 a29, v39
	v_pk_add_f32 v[32:33], v[40:41], v[32:33]
	v_mov_b32_e32 v62, v34
	s_mov_b32 s48, s43
	v_pk_mul_f32 v[38:39], v[130:131], s[52:53]
	v_accvgpr_write_b32 a43, v37
	v_accvgpr_write_b32 a53, v35
	v_pk_add_f32 v[32:33], v[62:63], v[32:33]
	v_pk_fma_f32 v[34:35], v[82:83], s[48:49], v[38:39]
	v_pk_fma_f32 v[62:63], v[82:83], s[48:49], v[38:39] neg_lo:[1,0,0] neg_hi:[1,0,0]
	v_accvgpr_write_b32 a42, v36
	v_mov_b32_e32 v62, v34
	v_pk_mul_f32 v[36:37], v[128:129], s[70:71]
	v_accvgpr_write_b32 a55, v35
	v_pk_add_f32 v[32:33], v[62:63], v[32:33]
	v_pk_fma_f32 v[34:35], v[84:85], s[40:41], v[36:37]
	v_pk_fma_f32 v[62:63], v[84:85], s[40:41], v[36:37] neg_lo:[1,0,0] neg_hi:[1,0,0]
	v_pk_mul_f32 v[196:197], v[126:127], s[44:45]
	v_mov_b32_e32 v62, v34
	v_accvgpr_write_b32 a57, v35
	v_pk_add_f32 v[32:33], v[62:63], v[32:33]
	v_pk_fma_f32 v[34:35], v[86:87], s[26:27], v[196:197]
	v_pk_fma_f32 v[62:63], v[86:87], s[26:27], v[196:197] neg_lo:[1,0,0] neg_hi:[1,0,0]
	s_mov_b32 s57, s63
	v_mov_b32_e32 v62, v34
	s_mov_b32 s52, s63
	s_mov_b32 s53, s56
	v_pk_mul_f32 v[200:201], v[124:125], s[56:57]
	v_accvgpr_write_b32 a59, v35
	v_pk_add_f32 v[32:33], v[62:63], v[32:33]
	v_pk_fma_f32 v[34:35], v[88:89], s[52:53], v[200:201]
	v_pk_fma_f32 v[62:63], v[88:89], s[52:53], v[200:201] neg_lo:[1,0,0] neg_hi:[1,0,0]
	v_pk_mul_f32 v[204:205], v[122:123], s[64:65]
	v_mov_b32_e32 v62, v34
	v_accvgpr_write_b32 a61, v35
	v_pk_add_f32 v[32:33], v[62:63], v[32:33]
	v_pk_fma_f32 v[34:35], v[90:91], s[34:35], v[204:205]
	v_pk_fma_f32 v[62:63], v[90:91], s[34:35], v[204:205] neg_lo:[1,0,0] neg_hi:[1,0,0]
	v_pk_mul_f32 v[208:209], v[120:121], s[46:47]
	v_mov_b32_e32 v62, v34
	v_accvgpr_write_b32 a63, v35
	v_pk_add_f32 v[32:33], v[62:63], v[32:33]
	v_pk_fma_f32 v[34:35], v[92:93], s[6:7], v[208:209]
	v_pk_fma_f32 v[62:63], v[92:93], s[6:7], v[208:209] neg_lo:[1,0,0] neg_hi:[1,0,0]
	s_mov_b32 s76, s35
	v_mov_b32_e32 v62, v34
	v_pk_add_f32 v[32:33], v[62:63], v[32:33]
	ds_write2_b64 v61, v[16:17], v[32:33] offset0:2 offset1:3
	s_mov_b32 s74, s61
	v_pk_mul_f32 v[16:17], v[136:137], s[76:77] op_sel_hi:[1,0]
	v_pk_mul_f32 v[216:217], v[132:133], s[42:43]
	v_pk_fma_f32 v[58:59], v[134:135], s[74:75], v[16:17] op_sel:[0,0,1] op_sel_hi:[1,0,0]
	v_pk_fma_f32 v[212:213], v[134:135], s[74:75], v[16:17] op_sel:[0,0,1] op_sel_hi:[1,0,0] neg_lo:[0,0,1] neg_hi:[0,0,1]
	v_mov_b32_e32 v16, v58
	v_mov_b32_e32 v17, v213
	v_pk_fma_f32 v[56:57], v[80:81], s[0:1], v[216:217]
	v_pk_fma_f32 v[32:33], v[80:81], s[0:1], v[216:217] neg_lo:[1,0,0] neg_hi:[1,0,0]
	v_pk_add_f32 v[16:17], v[40:41], v[16:17]
	v_mov_b32_e32 v32, v56
	v_pk_mul_f32 v[220:221], v[130:131], s[70:71]
	v_pk_add_f32 v[16:17], v[32:33], v[16:17]
	v_pk_fma_f32 v[54:55], v[82:83], s[40:41], v[220:221]
	v_pk_fma_f32 v[32:33], v[82:83], s[40:41], v[220:221] neg_lo:[1,0,0] neg_hi:[1,0,0]
	v_pk_mul_f32 v[224:225], v[128:129], s[62:63]
	v_mov_b32_e32 v32, v54
	v_pk_add_f32 v[16:17], v[32:33], v[16:17]
	v_pk_fma_f32 v[52:53], v[84:85], s[16:17], v[224:225]
	v_pk_fma_f32 v[32:33], v[84:85], s[16:17], v[224:225] neg_lo:[1,0,0] neg_hi:[1,0,0]
	v_pk_mul_f32 v[228:229], v[126:127], s[68:69]
	v_mov_b32_e32 v32, v52
	;; [unrolled: 5-line block ×3, first 2 shown]
	s_mov_b32 s63, 0x3f4c4adb
	v_pk_add_f32 v[16:17], v[32:33], v[16:17]
	v_pk_fma_f32 v[48:49], v[88:89], s[6:7], v[232:233]
	v_pk_fma_f32 v[32:33], v[88:89], s[6:7], v[232:233] neg_lo:[1,0,0] neg_hi:[1,0,0]
	s_mov_b32 s74, s63
	s_mov_b32 s75, s59
	v_mov_b32_e32 v32, v48
	s_mov_b32 s62, s59
	v_pk_mul_f32 v[236:237], v[122:123], s[74:75]
	v_pk_add_f32 v[16:17], v[32:33], v[16:17]
	v_pk_fma_f32 v[46:47], v[90:91], s[62:63], v[236:237]
	v_pk_fma_f32 v[32:33], v[90:91], s[62:63], v[236:237] neg_lo:[1,0,0] neg_hi:[1,0,0]
	v_pk_mul_f32 v[240:241], v[120:121], s[44:45]
	v_mov_b32_e32 v32, v46
	v_pk_add_f32 v[16:17], v[32:33], v[16:17]
	v_pk_fma_f32 v[44:45], v[92:93], s[26:27], v[240:241]
	v_pk_fma_f32 v[32:33], v[92:93], s[26:27], v[240:241] neg_lo:[1,0,0] neg_hi:[1,0,0]
	s_mov_b32 s76, s51
	v_mov_b32_e32 v32, v44
	v_pk_add_f32 v[114:115], v[32:33], v[16:17]
	v_pk_mul_f32 v[16:17], v[136:137], s[50:51] op_sel_hi:[1,0]
	v_pk_mul_f32 v[248:249], v[132:133], s[72:73]
	v_pk_fma_f32 v[242:243], v[134:135], s[76:77], v[16:17] op_sel:[0,0,1] op_sel_hi:[1,0,0]
	v_pk_fma_f32 v[244:245], v[134:135], s[76:77], v[16:17] op_sel:[0,0,1] op_sel_hi:[1,0,0] neg_lo:[0,0,1] neg_hi:[0,0,1]
	v_mov_b32_e32 v16, v242
	v_mov_b32_e32 v17, v245
	v_pk_fma_f32 v[246:247], v[80:81], s[38:39], v[248:249]
	v_pk_fma_f32 v[32:33], v[80:81], s[38:39], v[248:249] neg_lo:[1,0,0] neg_hi:[1,0,0]
	v_pk_add_f32 v[16:17], v[40:41], v[16:17]
	v_mov_b32_e32 v32, v246
	v_pk_mul_f32 v[252:253], v[130:131], s[44:45]
	v_pk_add_f32 v[16:17], v[32:33], v[16:17]
	v_pk_fma_f32 v[250:251], v[82:83], s[26:27], v[252:253]
	v_pk_fma_f32 v[32:33], v[82:83], s[26:27], v[252:253] neg_lo:[1,0,0] neg_hi:[1,0,0]
	v_accvgpr_write_b32 a65, v35
	v_mov_b32_e32 v32, v250
	v_pk_add_f32 v[32:33], v[32:33], v[16:17]
	v_pk_mul_f32 v[16:17], v[128:129], s[68:69]
	s_mov_b32 s68, s59
	v_pk_fma_f32 v[254:255], v[84:85], s[30:31], v[16:17]
	v_pk_fma_f32 v[62:63], v[84:85], s[30:31], v[16:17] neg_lo:[1,0,0] neg_hi:[1,0,0]
	v_mov_b32_e32 v19, v144
	v_mov_b32_e32 v62, v254
	v_pk_add_f32 v[64:65], v[62:63], v[32:33]
	v_pk_mul_f32 v[62:63], v[126:127], s[42:43]
	v_pk_mul_f32 v[118:119], v[118:119], s[0:1]
	v_pk_fma_f32 v[34:35], v[86:87], s[0:1], v[62:63]
	v_pk_fma_f32 v[94:95], v[86:87], s[0:1], v[62:63] neg_lo:[1,0,0] neg_hi:[1,0,0]
	v_pk_add_f32 v[112:113], v[112:113], v[118:119] neg_lo:[0,1] neg_hi:[0,1]
	v_mov_b32_e32 v94, v34
	v_pk_add_f32 v[98:99], v[94:95], v[64:65]
	v_pk_mul_f32 v[94:95], v[124:125], s[60:61]
	v_mov_b32_e32 v111, v113
	v_pk_fma_f32 v[64:65], v[88:89], s[36:37], v[94:95]
	v_pk_fma_f32 v[102:103], v[88:89], s[36:37], v[94:95] neg_lo:[1,0,0] neg_hi:[1,0,0]
	v_pk_mul_f32 v[112:113], v[80:81], s[16:17]
	v_mov_b32_e32 v102, v64
	v_pk_add_f32 v[106:107], v[102:103], v[98:99]
	v_pk_mul_f32 v[102:103], v[122:123], s[56:57]
	v_pk_add_f32 v[112:113], v[142:143], v[112:113] neg_lo:[0,1] neg_hi:[0,1]
	v_pk_fma_f32 v[98:99], v[90:91], s[52:53], v[102:103]
	v_pk_fma_f32 v[116:117], v[90:91], s[52:53], v[102:103] neg_lo:[1,0,0] neg_hi:[1,0,0]
	v_mov_b32_e32 v147, v113
	v_mov_b32_e32 v116, v98
	v_pk_add_f32 v[138:139], v[116:117], v[106:107]
	v_pk_mul_f32 v[116:117], v[120:121], s[58:59]
	v_pk_mul_f32 v[112:113], v[82:83], s[6:7]
	v_pk_fma_f32 v[32:33], v[92:93], s[18:19], v[116:117]
	v_pk_fma_f32 v[106:107], v[92:93], s[18:19], v[116:117] neg_lo:[1,0,0] neg_hi:[1,0,0]
	v_pk_add_f32 v[112:113], v[154:155], v[112:113] neg_lo:[0,1] neg_hi:[0,1]
	v_mov_b32_e32 v106, v32
	v_pk_add_f32 v[106:107], v[106:107], v[138:139]
	ds_write2_b64 v61, v[114:115], v[106:107] offset0:4 offset1:5
	v_pk_mul_f32 v[106:107], v[136:137], s[58:59] op_sel_hi:[1,0]
	v_mov_b32_e32 v32, v145
	v_pk_fma_f32 v[114:115], v[134:135], s[68:69], v[106:107] op_sel:[0,0,1] op_sel_hi:[1,0,0]
	v_pk_fma_f32 v[106:107], v[134:135], s[68:69], v[106:107] op_sel:[0,0,1] op_sel_hi:[1,0,0] neg_lo:[0,0,1] neg_hi:[0,0,1]
	v_pk_mul_f32 v[144:145], v[132:133], s[70:71]
	v_mov_b32_e32 v138, v114
	v_mov_b32_e32 v139, v107
	v_pk_fma_f32 v[178:179], v[80:81], s[40:41], v[144:145]
	v_pk_fma_f32 v[150:151], v[80:81], s[40:41], v[144:145] neg_lo:[1,0,0] neg_hi:[1,0,0]
	v_pk_add_f32 v[138:139], v[40:41], v[138:139]
	v_mov_b32_e32 v150, v178
	v_pk_add_f32 v[138:139], v[150:151], v[138:139]
	v_pk_mul_f32 v[150:151], v[130:131], s[56:57]
	v_mov_b32_e32 v157, v113
	v_pk_fma_f32 v[186:187], v[82:83], s[52:53], v[150:151]
	v_pk_fma_f32 v[182:183], v[82:83], s[52:53], v[150:151] neg_lo:[1,0,0] neg_hi:[1,0,0]
	v_pk_mul_f32 v[112:113], v[84:85], s[26:27]
	v_mov_b32_e32 v182, v186
	v_pk_add_f32 v[138:139], v[182:183], v[138:139]
	v_pk_mul_f32 v[182:183], v[128:129], s[46:47]
	v_pk_add_f32 v[112:113], v[158:159], v[112:113] neg_lo:[0,1] neg_hi:[0,1]
	v_pk_fma_f32 v[194:195], v[84:85], s[6:7], v[182:183]
	v_pk_fma_f32 v[190:191], v[84:85], s[6:7], v[182:183] neg_lo:[1,0,0] neg_hi:[1,0,0]
	v_mov_b32_e32 v161, v113
	v_mov_b32_e32 v190, v194
	v_pk_add_f32 v[138:139], v[190:191], v[138:139]
	v_pk_mul_f32 v[190:191], v[126:127], s[60:61]
	v_pk_mul_f32 v[112:113], v[86:87], s[18:19]
	v_pk_fma_f32 v[202:203], v[86:87], s[36:37], v[190:191]
	v_pk_fma_f32 v[198:199], v[86:87], s[36:37], v[190:191] neg_lo:[1,0,0] neg_hi:[1,0,0]
	v_pk_add_f32 v[112:113], v[162:163], v[112:113] neg_lo:[0,1] neg_hi:[0,1]
	v_mov_b32_e32 v198, v202
	v_pk_add_f32 v[138:139], v[198:199], v[138:139]
	v_pk_mul_f32 v[198:199], v[124:125], s[66:67]
	v_pk_add_f32 v[110:111], v[40:41], v[110:111]
	v_pk_fma_f32 v[140:141], v[88:89], s[28:29], v[198:199]
	v_pk_fma_f32 v[206:207], v[88:89], s[28:29], v[198:199] neg_lo:[1,0,0] neg_hi:[1,0,0]
	v_mov_b32_e32 v165, v113
	v_mov_b32_e32 v206, v140
	v_pk_add_f32 v[138:139], v[206:207], v[138:139]
	v_pk_mul_f32 v[206:207], v[122:123], s[42:43]
	v_pk_mul_f32 v[112:113], v[88:89], s[24:25]
	v_pk_fma_f32 v[152:153], v[90:91], s[0:1], v[206:207]
	v_pk_fma_f32 v[148:149], v[90:91], s[0:1], v[206:207] neg_lo:[1,0,0] neg_hi:[1,0,0]
	v_pk_add_f32 v[110:111], v[146:147], v[110:111]
	v_pk_add_f32 v[112:113], v[166:167], v[112:113] neg_lo:[0,1] neg_hi:[0,1]
	v_mov_b32_e32 v148, v152
	v_pk_add_f32 v[110:111], v[156:157], v[110:111]
	v_mov_b32_e32 v169, v113
	v_pk_mul_f32 v[112:113], v[90:91], s[20:21]
	v_pk_add_f32 v[138:139], v[148:149], v[138:139]
	v_pk_mul_f32 v[148:149], v[120:121], s[54:55]
	v_pk_add_f32 v[110:111], v[160:161], v[110:111]
	v_pk_add_f32 v[112:113], v[170:171], v[112:113] neg_lo:[0,1] neg_hi:[0,1]
	v_pk_fma_f32 v[214:215], v[92:93], s[24:25], v[148:149]
	v_pk_fma_f32 v[210:211], v[92:93], s[24:25], v[148:149] neg_lo:[1,0,0] neg_hi:[1,0,0]
	v_pk_add_f32 v[110:111], v[164:165], v[110:111]
	v_mov_b32_e32 v173, v113
	v_pk_mul_f32 v[112:113], v[92:93], s[36:37]
	v_mov_b32_e32 v210, v214
	s_mov_b32 s58, s47
	v_pk_mul_f32 v[136:137], v[136:137], s[46:47] op_sel_hi:[1,0]
	v_pk_add_f32 v[110:111], v[168:169], v[110:111]
	v_pk_add_f32 v[112:113], v[174:175], v[112:113] neg_lo:[0,1] neg_hi:[0,1]
	v_pk_add_f32 v[138:139], v[210:211], v[138:139]
	v_pk_fma_f32 v[210:211], v[134:135], s[58:59], v[136:137] op_sel:[0,0,1] op_sel_hi:[1,0,0]
	v_pk_fma_f32 v[134:135], v[134:135], s[58:59], v[136:137] op_sel:[0,0,1] op_sel_hi:[1,0,0] neg_lo:[0,0,1] neg_hi:[0,0,1]
	v_pk_mul_f32 v[132:133], v[132:133], s[54:55]
	v_pk_add_f32 v[110:111], v[172:173], v[110:111]
	v_mov_b32_e32 v177, v113
	v_mov_b32_e32 v137, v135
	v_pk_fma_f32 v[222:223], v[80:81], s[24:25], v[132:133]
	v_pk_add_f32 v[110:111], v[176:177], v[110:111]
	v_mov_b32_e32 v135, v211
	v_pk_fma_f32 v[112:113], v[80:81], s[24:25], v[132:133] neg_lo:[0,0,1] neg_hi:[0,0,1]
	v_pk_mul_f32 v[130:131], v[130:131], s[64:65]
	ds_write2_b64 v61, v[110:111], v[78:79] offset0:8 offset1:9
	v_pk_add_f32 v[110:111], v[40:41], v[134:135]
	v_mov_b32_e32 v113, v223
	v_pk_fma_f32 v[226:227], v[82:83], s[34:35], v[130:131]
	v_pk_add_f32 v[110:111], v[112:113], v[110:111]
	v_pk_fma_f32 v[112:113], v[82:83], s[34:35], v[130:131] neg_lo:[0,0,1] neg_hi:[0,0,1]
	v_pk_mul_f32 v[128:129], v[128:129], s[74:75]
	v_mov_b32_e32 v113, v227
	v_pk_fma_f32 v[230:231], v[84:85], s[62:63], v[128:129]
	v_pk_add_f32 v[110:111], v[112:113], v[110:111]
	v_pk_fma_f32 v[112:113], v[84:85], s[62:63], v[128:129] neg_lo:[0,0,1] neg_hi:[0,0,1]
	v_pk_mul_f32 v[126:127], v[126:127], s[56:57]
	;; [unrolled: 5-line block ×5, first 2 shown]
	v_mov_b32_e32 v113, v185
	v_pk_fma_f32 v[188:189], v[92:93], s[20:21], v[120:121]
	v_pk_add_f32 v[110:111], v[112:113], v[110:111]
	v_pk_fma_f32 v[112:113], v[92:93], s[20:21], v[120:121] neg_lo:[0,0,1] neg_hi:[0,0,1]
	v_mov_b32_e32 v107, v115
	v_mov_b32_e32 v113, v189
	v_pk_add_f32 v[110:111], v[112:113], v[110:111]
	v_pk_fma_f32 v[112:113], v[80:81], s[40:41], v[144:145] neg_lo:[0,0,1] neg_hi:[0,0,1]
	v_pk_add_f32 v[106:107], v[40:41], v[106:107]
	v_mov_b32_e32 v113, v179
	v_pk_add_f32 v[106:107], v[112:113], v[106:107]
	v_pk_fma_f32 v[112:113], v[82:83], s[52:53], v[150:151] neg_lo:[0,0,1] neg_hi:[0,0,1]
	v_mov_b32_e32 v245, v243
	v_mov_b32_e32 v113, v187
	v_pk_add_f32 v[106:107], v[112:113], v[106:107]
	v_pk_fma_f32 v[112:113], v[84:85], s[6:7], v[182:183] neg_lo:[0,0,1] neg_hi:[0,0,1]
	v_pk_fma_f32 v[16:17], v[84:85], s[30:31], v[16:17] neg_lo:[0,0,1] neg_hi:[0,0,1]
	v_mov_b32_e32 v113, v195
	v_pk_add_f32 v[106:107], v[112:113], v[106:107]
	v_pk_fma_f32 v[112:113], v[86:87], s[36:37], v[190:191] neg_lo:[0,0,1] neg_hi:[0,0,1]
	v_mov_b32_e32 v17, v255
	v_mov_b32_e32 v113, v203
	v_pk_add_f32 v[106:107], v[112:113], v[106:107]
	v_pk_fma_f32 v[112:113], v[88:89], s[28:29], v[198:199] neg_lo:[0,0,1] neg_hi:[0,0,1]
	v_pk_fma_f32 v[62:63], v[86:87], s[0:1], v[62:63] neg_lo:[0,0,1] neg_hi:[0,0,1]
	;; [unrolled: 8-line block ×3, first 2 shown]
	v_mov_b32_e32 v113, v215
	v_pk_add_f32 v[106:107], v[112:113], v[106:107]
	ds_write2_b64 v61, v[110:111], v[106:107] offset0:10 offset1:11
	v_pk_fma_f32 v[110:111], v[80:81], s[38:39], v[248:249] neg_lo:[0,0,1] neg_hi:[0,0,1]
	v_pk_add_f32 v[106:107], v[40:41], v[244:245]
	v_mov_b32_e32 v111, v247
	v_pk_add_f32 v[106:107], v[110:111], v[106:107]
	v_pk_fma_f32 v[110:111], v[82:83], s[26:27], v[252:253] neg_lo:[0,0,1] neg_hi:[0,0,1]
	v_mov_b32_e32 v35, v65
	v_mov_b32_e32 v111, v251
	v_pk_add_f32 v[106:107], v[110:111], v[106:107]
	v_mov_b32_e32 v213, v59
	v_pk_add_f32 v[16:17], v[16:17], v[106:107]
	v_mov_b32_e32 v145, v32
	v_pk_add_f32 v[16:17], v[62:63], v[16:17]
	v_mov_b32_e32 v181, v97
	v_pk_add_f32 v[16:17], v[34:35], v[16:17]
	v_pk_fma_f32 v[34:35], v[90:91], s[52:53], v[102:103] neg_lo:[0,0,1] neg_hi:[0,0,1]
	v_accvgpr_read_b32 v97, a31
	v_mov_b32_e32 v35, v99
	v_pk_add_f32 v[16:17], v[34:35], v[16:17]
	v_pk_fma_f32 v[34:35], v[92:93], s[18:19], v[116:117] neg_lo:[0,0,1] neg_hi:[0,0,1]
	v_mov_b32_e32 v144, v19
	v_mov_b32_e32 v35, v33
	v_pk_add_f32 v[16:17], v[34:35], v[16:17]
	v_pk_fma_f32 v[34:35], v[80:81], s[0:1], v[216:217] neg_lo:[0,0,1] neg_hi:[0,0,1]
	v_pk_add_f32 v[32:33], v[40:41], v[212:213]
	v_mov_b32_e32 v35, v57
	v_pk_add_f32 v[32:33], v[34:35], v[32:33]
	v_pk_fma_f32 v[34:35], v[82:83], s[40:41], v[220:221] neg_lo:[0,0,1] neg_hi:[0,0,1]
	v_accvgpr_read_b32 v19, a1
	v_mov_b32_e32 v35, v55
	v_pk_add_f32 v[32:33], v[34:35], v[32:33]
	v_pk_fma_f32 v[34:35], v[84:85], s[16:17], v[224:225] neg_lo:[0,0,1] neg_hi:[0,0,1]
	v_mov_b32_e32 v136, v210
	v_mov_b32_e32 v35, v53
	v_pk_add_f32 v[32:33], v[34:35], v[32:33]
	v_pk_fma_f32 v[34:35], v[86:87], s[30:31], v[228:229] neg_lo:[0,0,1] neg_hi:[0,0,1]
	v_pk_fma_f32 v[218:219], v[80:81], s[24:25], v[132:133] neg_lo:[1,0,0] neg_hi:[1,0,0]
	v_mov_b32_e32 v35, v51
	v_pk_add_f32 v[32:33], v[34:35], v[32:33]
	v_pk_fma_f32 v[34:35], v[88:89], s[6:7], v[232:233] neg_lo:[0,0,1] neg_hi:[0,0,1]
	v_pk_add_f32 v[136:137], v[40:41], v[136:137]
	v_mov_b32_e32 v35, v49
	v_pk_add_f32 v[32:33], v[34:35], v[32:33]
	v_pk_fma_f32 v[34:35], v[90:91], s[62:63], v[236:237] neg_lo:[0,0,1] neg_hi:[0,0,1]
	v_mov_b32_e32 v218, v222
	v_mov_b32_e32 v35, v47
	v_pk_add_f32 v[32:33], v[34:35], v[32:33]
	v_pk_fma_f32 v[34:35], v[92:93], s[26:27], v[240:241] neg_lo:[0,0,1] neg_hi:[0,0,1]
	v_pk_add_f32 v[136:137], v[218:219], v[136:137]
	v_mov_b32_e32 v35, v45
	v_pk_add_f32 v[32:33], v[34:35], v[32:33]
	ds_write2_b64 v61, v[16:17], v[32:33] offset0:12 offset1:13
	v_pk_fma_f32 v[32:33], v[80:81], s[18:19], v[42:43] neg_lo:[0,0,1] neg_hi:[0,0,1]
	v_pk_add_f32 v[16:17], v[40:41], v[180:181]
	v_accvgpr_read_b32 v33, a53
	v_pk_add_f32 v[16:17], v[32:33], v[16:17]
	v_pk_fma_f32 v[32:33], v[82:83], s[48:49], v[38:39] neg_lo:[0,0,1] neg_hi:[0,0,1]
	v_accvgpr_read_b32 v34, a36
	v_accvgpr_read_b32 v33, a55
	v_pk_add_f32 v[16:17], v[32:33], v[16:17]
	v_pk_fma_f32 v[32:33], v[84:85], s[40:41], v[36:37] neg_lo:[0,0,1] neg_hi:[0,0,1]
	v_accvgpr_read_b32 v35, a37
	v_accvgpr_read_b32 v33, a57
	v_pk_add_f32 v[16:17], v[32:33], v[16:17]
	v_pk_fma_f32 v[32:33], v[86:87], s[26:27], v[196:197] neg_lo:[0,0,1] neg_hi:[0,0,1]
	v_pk_fma_f32 v[34:35], v[80:81], s[34:35], v[34:35] neg_lo:[0,0,1] neg_hi:[0,0,1]
	v_accvgpr_read_b32 v33, a59
	v_pk_add_f32 v[16:17], v[32:33], v[16:17]
	v_pk_fma_f32 v[32:33], v[88:89], s[52:53], v[200:201] neg_lo:[0,0,1] neg_hi:[0,0,1]
	v_accvgpr_read_b32 v35, a33
	v_accvgpr_read_b32 v33, a61
	v_pk_add_f32 v[16:17], v[32:33], v[16:17]
	v_pk_fma_f32 v[32:33], v[90:91], s[34:35], v[204:205] neg_lo:[0,0,1] neg_hi:[0,0,1]
	v_pk_fma_f32 v[218:219], v[82:83], s[34:35], v[130:131] neg_lo:[1,0,0] neg_hi:[1,0,0]
	v_accvgpr_read_b32 v33, a63
	v_pk_add_f32 v[16:17], v[32:33], v[16:17]
	v_pk_fma_f32 v[32:33], v[92:93], s[6:7], v[208:209] neg_lo:[0,0,1] neg_hi:[0,0,1]
	v_mov_b32_e32 v218, v226
	v_accvgpr_read_b32 v33, a65
	v_pk_add_f32 v[16:17], v[32:33], v[16:17]
	v_pk_add_f32 v[32:33], v[40:41], v[96:97]
	;; [unrolled: 1-line block ×4, first 2 shown]
	v_accvgpr_read_b32 v34, a40
	v_accvgpr_read_b32 v35, a41
	v_pk_fma_f32 v[34:35], v[82:83], s[18:19], v[34:35] neg_lo:[0,0,1] neg_hi:[0,0,1]
	v_pk_fma_f32 v[218:219], v[84:85], s[62:63], v[128:129] neg_lo:[1,0,0] neg_hi:[1,0,0]
	v_accvgpr_read_b32 v35, a35
	v_pk_add_f32 v[32:33], v[34:35], v[32:33]
	v_accvgpr_read_b32 v34, a42
	v_accvgpr_read_b32 v35, a43
	v_pk_fma_f32 v[34:35], v[84:85], s[0:1], v[34:35] neg_lo:[0,0,1] neg_hi:[0,0,1]
	v_mov_b32_e32 v218, v230
	v_accvgpr_read_b32 v35, a39
	v_pk_add_f32 v[32:33], v[34:35], v[32:33]
	v_pk_fma_f32 v[34:35], v[86:87], s[38:39], v[108:109] neg_lo:[0,0,1] neg_hi:[0,0,1]
	v_pk_add_f32 v[136:137], v[218:219], v[136:137]
	v_accvgpr_read_b32 v35, a45
	v_pk_add_f32 v[32:33], v[34:35], v[32:33]
	v_pk_fma_f32 v[34:35], v[88:89], s[40:41], v[104:105] neg_lo:[0,0,1] neg_hi:[0,0,1]
	v_pk_fma_f32 v[218:219], v[86:87], s[52:53], v[126:127] neg_lo:[1,0,0] neg_hi:[1,0,0]
	v_accvgpr_read_b32 v35, a47
	v_pk_add_f32 v[32:33], v[34:35], v[32:33]
	v_pk_fma_f32 v[34:35], v[90:91], s[24:25], v[100:101] neg_lo:[0,0,1] neg_hi:[0,0,1]
	v_mov_b32_e32 v218, v234
	v_accvgpr_read_b32 v35, a49
	v_pk_add_f32 v[32:33], v[34:35], v[32:33]
	v_pk_fma_f32 v[34:35], v[92:93], s[16:17], v[76:77] neg_lo:[0,0,1] neg_hi:[0,0,1]
	v_pk_add_f32 v[136:137], v[218:219], v[136:137]
	v_accvgpr_read_b32 v35, a51
	v_pk_add_f32 v[32:33], v[34:35], v[32:33]
	ds_write2_b64 v61, v[16:17], v[32:33] offset0:14 offset1:15
	v_pk_add_f32 v[16:17], v[40:41], v[18:19]
	v_accvgpr_read_b32 v19, a5
	v_accvgpr_read_b32 v18, a4
	v_pk_fma_f32 v[18:19], v[80:81], s[28:29], v[18:19] neg_lo:[0,0,1] neg_hi:[0,0,1]
	v_pk_fma_f32 v[218:219], v[88:89], s[0:1], v[124:125] neg_lo:[1,0,0] neg_hi:[1,0,0]
	v_accvgpr_read_b32 v19, a3
	v_pk_add_f32 v[16:17], v[18:19], v[16:17]
	v_accvgpr_read_b32 v19, a9
	v_accvgpr_read_b32 v18, a8
	v_pk_fma_f32 v[18:19], v[82:83], s[30:31], v[18:19] neg_lo:[0,0,1] neg_hi:[0,0,1]
	v_mov_b32_e32 v218, v238
	v_accvgpr_read_b32 v19, a7
	v_pk_add_f32 v[16:17], v[18:19], v[16:17]
	v_accvgpr_read_b32 v19, a15
	v_accvgpr_read_b32 v18, a14
	v_pk_fma_f32 v[18:19], v[84:85], s[34:35], v[18:19] neg_lo:[0,0,1] neg_hi:[0,0,1]
	v_pk_add_f32 v[136:137], v[218:219], v[136:137]
	v_accvgpr_read_b32 v19, a11
	v_pk_add_f32 v[16:17], v[18:19], v[16:17]
	v_accvgpr_read_b32 v18, a18
	v_accvgpr_read_b32 v19, a19
	v_pk_fma_f32 v[18:19], v[86:87], s[20:21], v[18:19] neg_lo:[0,0,1] neg_hi:[0,0,1]
	v_pk_fma_f32 v[218:219], v[90:91], s[26:27], v[122:123] neg_lo:[1,0,0] neg_hi:[1,0,0]
	v_accvgpr_read_b32 v19, a13
	v_pk_add_f32 v[16:17], v[18:19], v[16:17]
	v_accvgpr_read_b32 v18, a22
	v_accvgpr_read_b32 v19, a23
	v_pk_fma_f32 v[18:19], v[88:89], s[18:19], v[18:19] neg_lo:[0,0,1] neg_hi:[0,0,1]
	v_mov_b32_e32 v218, v184
	v_accvgpr_read_b32 v19, a17
	v_pk_add_f32 v[16:17], v[18:19], v[16:17]
	v_accvgpr_read_b32 v18, a26
	v_accvgpr_read_b32 v19, a27
	v_pk_fma_f32 v[18:19], v[90:91], s[6:7], v[18:19] neg_lo:[0,0,1] neg_hi:[0,0,1]
	v_pk_add_f32 v[136:137], v[218:219], v[136:137]
	v_accvgpr_read_b32 v19, a21
	v_pk_add_f32 v[16:17], v[18:19], v[16:17]
	v_accvgpr_read_b32 v18, a28
	v_accvgpr_read_b32 v19, a29
	v_pk_fma_f32 v[218:219], v[92:93], s[20:21], v[120:121] neg_lo:[1,0,0] neg_hi:[1,0,0]
	v_pk_fma_f32 v[18:19], v[92:93], s[0:1], v[18:19] neg_lo:[0,0,1] neg_hi:[0,0,1]
	v_mov_b32_e32 v218, v188
	v_accvgpr_read_b32 v19, a25
	v_pk_add_f32 v[136:137], v[218:219], v[136:137]
	v_accvgpr_read_b32 v208, a0
	v_pk_add_f32 v[16:17], v[18:19], v[16:17]
	ds_write2_b64 v61, v[138:139], v[136:137] offset0:6 offset1:7
	ds_write_b64 v61, v[16:17] offset:128
.LBB0_17:
	s_or_b64 exec, exec, s[22:23]
	s_waitcnt lgkmcnt(0)
	s_barrier
	v_add_u32_e32 v53, 0x400, v60
	ds_read2_b64 v[38:41], v60 offset1:102
	ds_read2_b64 v[34:37], v53 offset0:76 offset1:178
	v_mov_b32_e32 v46, v13
	v_add_u32_e32 v52, 0x800, v60
	v_add_u32_e32 v61, 0x1000, v60
	s_waitcnt lgkmcnt(1)
	v_pk_mul_f32 v[46:47], v[46:47], v[40:41] op_sel:[0,1] op_sel_hi:[1,0]
	v_pk_mul_f32 v[48:49], v[12:13], v[40:41] op_sel:[0,1] op_sel_hi:[1,0]
	v_pk_fma_f32 v[50:51], v[12:13], v[40:41], v[46:47]
	ds_read_b64 v[46:47], v60 offset:6528
	v_mov_b32_e32 v49, v48
	v_pk_fma_f32 v[12:13], v[12:13], v[40:41], v[48:49] op_sel:[0,1,0] op_sel_hi:[1,0,1] neg_lo:[1,0,0] neg_hi:[1,0,0]
	s_waitcnt lgkmcnt(1)
	v_pk_mul_f32 v[54:55], v[14:15], v[34:35] op_sel:[1,0]
	v_mov_b32_e32 v12, v3
	s_waitcnt lgkmcnt(0)
	v_pk_mul_f32 v[40:41], v[12:13], v[46:47] op_sel:[0,1] op_sel_hi:[1,0]
	v_pk_mul_f32 v[48:49], v[2:3], v[46:47] op_sel:[0,1] op_sel_hi:[1,0]
	v_pk_fma_f32 v[40:41], v[2:3], v[46:47], v[40:41]
	v_pk_fma_f32 v[56:57], v[14:15], v[34:35], v[54:55] op_sel:[0,0,1] op_sel_hi:[1,1,0]
	v_mov_b32_e32 v41, v48
	v_pk_fma_f32 v[2:3], v[2:3], v[46:47], v[40:41] op_sel:[0,1,0] op_sel_hi:[1,0,1] neg_lo:[1,0,0] neg_hi:[1,0,0]
	ds_read2_b64 v[46:49], v52 offset0:152 offset1:254
	v_pk_fma_f32 v[14:15], v[14:15], v[34:35], v[54:55] op_sel:[0,0,1] op_sel_hi:[0,1,0] neg_lo:[0,0,1] neg_hi:[0,0,1]
	v_pk_mul_f32 v[34:35], v[8:9], v[36:37] op_sel:[1,0]
	ds_read2_b64 v[42:45], v61 offset0:100 offset1:202
	v_pk_fma_f32 v[54:55], v[8:9], v[36:37], v[34:35] op_sel:[0,0,1] op_sel_hi:[1,1,0]
	v_pk_fma_f32 v[8:9], v[8:9], v[36:37], v[34:35] op_sel:[0,0,1] op_sel_hi:[0,1,0] neg_lo:[0,0,1] neg_hi:[0,0,1]
	v_mov_b32_e32 v55, v9
	s_waitcnt lgkmcnt(1)
	v_pk_mul_f32 v[8:9], v[10:11], v[46:47] op_sel:[1,0]
	v_mov_b32_e32 v57, v15
	v_pk_fma_f32 v[58:59], v[10:11], v[46:47], v[8:9] op_sel:[0,0,1] op_sel_hi:[1,1,0]
	v_pk_fma_f32 v[8:9], v[10:11], v[46:47], v[8:9] op_sel:[0,0,1] op_sel_hi:[0,1,0] neg_lo:[0,0,1] neg_hi:[0,0,1]
	v_mov_b32_e32 v59, v9
	v_pk_mul_f32 v[8:9], v[4:5], v[48:49] op_sel:[1,0]
	s_mov_b32 s6, 0x3f248dbb
	v_pk_fma_f32 v[10:11], v[4:5], v[48:49], v[8:9] op_sel:[0,0,1] op_sel_hi:[1,1,0]
	v_pk_fma_f32 v[4:5], v[4:5], v[48:49], v[8:9] op_sel:[0,0,1] op_sel_hi:[0,1,0] neg_lo:[0,0,1] neg_hi:[0,0,1]
	v_mov_b32_e32 v11, v5
	s_waitcnt lgkmcnt(0)
	v_pk_mul_f32 v[4:5], v[6:7], v[42:43] op_sel:[1,0]
	v_mov_b32_e32 v41, v3
	v_pk_fma_f32 v[8:9], v[6:7], v[42:43], v[4:5] op_sel:[0,0,1] op_sel_hi:[1,1,0]
	v_pk_fma_f32 v[4:5], v[6:7], v[42:43], v[4:5] op_sel:[0,0,1] op_sel_hi:[0,1,0] neg_lo:[0,0,1] neg_hi:[0,0,1]
	v_mov_b32_e32 v9, v5
	v_pk_mul_f32 v[4:5], v[0:1], v[44:45] op_sel:[1,0]
	v_mov_b32_e32 v2, v3
	v_pk_fma_f32 v[6:7], v[0:1], v[44:45], v[4:5] op_sel:[0,0,1] op_sel_hi:[1,1,0]
	v_pk_fma_f32 v[0:1], v[0:1], v[44:45], v[4:5] op_sel:[0,0,1] op_sel_hi:[0,1,0] neg_lo:[0,0,1] neg_hi:[0,0,1]
	v_mov_b32_e32 v7, v1
	v_pk_add_f32 v[42:43], v[56:57], v[6:7]
	v_mov_b32_e32 v3, v6
	v_mov_b32_e32 v6, v15
	;; [unrolled: 1-line block ×5, first 2 shown]
	s_mov_b32 s7, 0x3f7c1c5c
	v_mov_b32_e32 v51, v13
	v_pk_add_f32 v[0:1], v[6:7], v[0:1] neg_lo:[0,1] neg_hi:[0,1]
	s_mov_b32 s16, s7
	s_mov_b32 s17, s6
	v_pk_add_f32 v[4:5], v[50:51], v[40:41]
	v_pk_add_f32 v[44:45], v[54:55], v[8:9]
	v_mov_b32_e32 v12, v13
	v_mov_b32_e32 v13, v56
	v_pk_add_f32 v[6:7], v[54:55], v[8:9] neg_lo:[0,1] neg_hi:[0,1]
	v_pk_mul_f32 v[8:9], v[0:1], s[16:17]
	s_mov_b32 s16, 0x3f441b7d
	v_pk_add_f32 v[2:3], v[12:13], v[2:3] neg_lo:[0,1] neg_hi:[0,1]
	s_mov_b32 s0, 0x3f5db3d7
	v_pk_fma_f32 v[14:15], v[4:5], s[16:17], v[38:39] op_sel_hi:[1,0,1]
	s_mov_b32 s18, 0x3e31d0d4
	v_pk_mul_f32 v[6:7], v[6:7], s[0:1] op_sel_hi:[1,0]
	v_pk_fma_f32 v[8:9], v[2:3], s[6:7], v[8:9]
	v_pk_fma_f32 v[14:15], v[42:43], s[18:19], v[14:15] op_sel_hi:[1,0,1]
	v_pk_add_f32 v[8:9], v[6:7], v[8:9] op_sel:[1,0] op_sel_hi:[0,1]
	v_pk_add_f32 v[12:13], v[58:59], v[10:11] neg_lo:[0,1] neg_hi:[0,1]
	s_mov_b32 s6, 0x3eaf1d44
	v_pk_fma_f32 v[14:15], v[44:45], 0.5, v[14:15] op_sel_hi:[1,0,1] neg_lo:[1,0,0] neg_hi:[1,0,0]
	v_pk_add_f32 v[40:41], v[58:59], v[10:11]
	s_mov_b32 s20, 0x3f708fb2
	v_pk_fma_f32 v[8:9], v[12:13], s[6:7], v[8:9] op_sel:[1,0,0] op_sel_hi:[0,0,1]
	v_pk_fma_f32 v[14:15], v[40:41], s[20:21], v[14:15] op_sel_hi:[1,0,1] neg_lo:[1,0,0] neg_hi:[1,0,0]
	s_mov_b32 s22, 0xbf248dbb
	v_pk_add_f32 v[46:47], v[14:15], v[8:9] neg_lo:[0,1] neg_hi:[0,1]
	v_pk_add_f32 v[14:15], v[14:15], v[8:9]
	s_nop 0
	v_mov_b32_e32 v47, v15
	v_pk_fma_f32 v[34:35], v[8:9], 2.0, v[46:47] op_sel_hi:[1,0,1]
	v_pk_fma_f32 v[36:37], v[8:9], 2.0, v[46:47] op_sel_hi:[1,0,1] neg_lo:[1,0,0] neg_hi:[1,0,0]
	v_pk_add_f32 v[8:9], v[42:43], v[4:5]
	s_barrier
	v_pk_add_f32 v[14:15], v[44:45], v[8:9]
	s_nop 0
	v_pk_add_f32 v[14:15], v[58:59], v[14:15]
	s_mov_b32 s24, s7
	v_pk_add_f32 v[10:11], v[10:11], v[14:15]
	v_mov_b32_e32 v14, v2
	v_pk_add_f32 v[10:11], v[10:11], v[38:39]
	ds_write2_b64 v192, v[10:11], v[46:47] offset1:17
	v_pk_mul_f32 v[10:11], v[12:13], s[22:23] op_sel:[1,0] op_sel_hi:[0,0]
	v_mov_b32_e32 v15, v1
	v_pk_fma_f32 v[10:11], v[14:15], s[24:25], v[10:11] op_sel_hi:[1,0,1]
	v_mov_b32_e32 v1, v3
	v_pk_add_f32 v[10:11], v[10:11], v[6:7] op_sel:[0,1] op_sel_hi:[1,0] neg_lo:[0,1] neg_hi:[0,1]
	v_pk_add_f32 v[50:51], v[44:45], v[38:39]
	v_pk_fma_f32 v[2:3], v[0:1], s[6:7], v[10:11] op_sel_hi:[1,0,1]
	v_pk_fma_f32 v[10:11], v[40:41], s[16:17], v[38:39] op_sel_hi:[1,0,1]
	v_pk_add_f32 v[8:9], v[40:41], v[8:9]
	v_pk_fma_f32 v[10:11], v[4:5], s[18:19], v[10:11] op_sel_hi:[1,0,1]
	v_pk_fma_f32 v[8:9], v[8:9], 0.5, v[50:51] op_sel_hi:[1,0,1] neg_lo:[1,0,0] neg_hi:[1,0,0]
	v_pk_fma_f32 v[10:11], v[44:45], 0.5, v[10:11] op_sel_hi:[1,0,1] neg_lo:[1,0,0] neg_hi:[1,0,0]
	v_mov_b32_e32 v35, v37
	v_pk_fma_f32 v[10:11], v[42:43], s[20:21], v[10:11] op_sel_hi:[1,0,1] neg_lo:[1,0,0] neg_hi:[1,0,0]
	v_mov_b32_e32 v32, v68
	v_pk_add_f32 v[46:47], v[10:11], v[2:3] neg_lo:[0,1] neg_hi:[0,1]
	v_pk_add_f32 v[10:11], v[10:11], v[2:3]
	v_mov_b32_e32 v33, v68
	v_fma_f32 v10, 2.0, v2, v46
	v_mov_b32_e32 v47, v11
	v_fmac_f32_e32 v11, -2.0, v3
	v_pk_add_f32 v[2:3], v[12:13], v[14:15] op_sel:[1,0] op_sel_hi:[0,1]
	v_pk_add_f32 v[2:3], v[2:3], v[0:1] neg_lo:[0,1] neg_hi:[0,1]
	v_mov_b32_e32 v68, v69
	v_pk_mul_f32 v[48:49], v[2:3], s[0:1] op_sel_hi:[1,0]
	v_pk_fma_f32 v[50:51], v[2:3], s[0:1], v[8:9] op_sel_hi:[1,0,1] neg_lo:[1,0,0] neg_hi:[1,0,0]
	v_pk_fma_f32 v[2:3], v[2:3], s[0:1], v[8:9] op_sel_hi:[1,0,1]
	v_pk_mul_f32 v[8:9], v[12:13], s[24:25] op_sel:[1,0] op_sel_hi:[0,0]
	v_pk_fma_f32 v[0:1], v[0:1], s[22:23], v[8:9] op_sel_hi:[1,0,1] neg_lo:[0,0,1] neg_hi:[0,0,1]
	v_fma_f32 v2, 2.0, v48, v50
	v_pk_add_f32 v[0:1], v[6:7], v[0:1] op_sel:[1,0] op_sel_hi:[0,1]
	v_pk_fma_f32 v[6:7], v[42:43], s[16:17], v[38:39] op_sel_hi:[1,0,1]
	v_pk_fma_f32 v[0:1], v[14:15], s[6:7], v[0:1] op_sel_hi:[1,0,1]
	;; [unrolled: 1-line block ×3, first 2 shown]
	v_mov_b32_e32 v51, v3
	v_pk_fma_f32 v[6:7], v[44:45], 0.5, v[6:7] op_sel_hi:[1,0,1] neg_lo:[1,0,0] neg_hi:[1,0,0]
	v_fmac_f32_e32 v3, -2.0, v49
	v_pk_fma_f32 v[4:5], v[4:5], s[20:21], v[6:7] op_sel_hi:[1,0,1] neg_lo:[1,0,0] neg_hi:[1,0,0]
	ds_write2_b64 v192, v[46:47], v[50:51] offset0:34 offset1:51
	v_pk_add_f32 v[6:7], v[4:5], v[0:1] neg_lo:[0,1] neg_hi:[0,1]
	v_pk_add_f32 v[4:5], v[4:5], v[0:1]
	v_mov_b32_e32 v18, v72
	v_fma_f32 v4, 2.0, v0, v6
	v_mov_b32_e32 v7, v5
	v_fmac_f32_e32 v5, -2.0, v1
	v_add_u32_e32 v0, 0xc00, v60
	ds_write2_b64 v192, v[6:7], v[4:5] offset0:68 offset1:85
	ds_write2_b64 v192, v[2:3], v[10:11] offset0:102 offset1:119
	ds_write_b64 v192, v[34:35] offset:1088
	s_waitcnt lgkmcnt(0)
	s_barrier
	ds_read2_b64 v[8:11], v60 offset1:102
	ds_read2_b64 v[12:15], v0 offset0:75 offset1:177
	ds_read2_b64 v[0:3], v53 offset0:76 offset1:178
	;; [unrolled: 1-line block ×3, first 2 shown]
	v_mov_b32_e32 v19, v72
	v_mov_b32_e32 v72, v73
	;; [unrolled: 1-line block ×8, first 2 shown]
	s_and_saveexec_b64 s[0:1], s[2:3]
	s_cbranch_execz .LBB0_19
; %bb.18:
	ds_read_b64 v[34:35], v60 offset:3264
	ds_read_b64 v[78:79], v60 offset:6936
	s_waitcnt lgkmcnt(1)
	v_mov_b32_e32 v37, v35
.LBB0_19:
	s_or_b64 exec, exec, s[0:1]
	s_waitcnt lgkmcnt(2)
	v_pk_mul_f32 v[54:55], v[68:69], v[12:13]
	v_pk_mul_f32 v[56:57], v[72:73], v[14:15]
	v_pk_fma_f32 v[64:65], v[32:33], v[12:13], v[54:55] op_sel:[0,0,1] op_sel_hi:[1,1,0]
	v_pk_fma_f32 v[12:13], v[32:33], v[12:13], v[54:55] op_sel:[0,0,1] op_sel_hi:[1,1,0] neg_lo:[0,0,1] neg_hi:[0,0,1]
	s_waitcnt lgkmcnt(0)
	v_mov_b32_e32 v65, v13
	v_pk_add_f32 v[12:13], v[8:9], v[64:65] neg_lo:[0,1] neg_hi:[0,1]
	s_barrier
	v_pk_fma_f32 v[8:9], v[8:9], 2.0, v[12:13] op_sel_hi:[1,0,1] neg_lo:[0,0,1] neg_hi:[0,0,1]
	ds_write2_b64 v60, v[8:9], v[12:13] offset1:153
	v_pk_fma_f32 v[8:9], v[18:19], v[14:15], v[56:57] op_sel:[0,0,1] op_sel_hi:[1,1,0]
	v_pk_fma_f32 v[12:13], v[18:19], v[14:15], v[56:57] op_sel:[0,0,1] op_sel_hi:[1,1,0] neg_lo:[0,0,1] neg_hi:[0,0,1]
	v_pk_mul_f32 v[58:59], v[70:71], v[4:5]
	v_mov_b32_e32 v9, v13
	v_pk_add_f32 v[8:9], v[10:11], v[8:9] neg_lo:[0,1] neg_hi:[0,1]
	v_pk_mul_f32 v[62:63], v[74:75], v[6:7]
	v_pk_fma_f32 v[10:11], v[10:11], 2.0, v[8:9] op_sel_hi:[1,0,1] neg_lo:[0,0,1] neg_hi:[0,0,1]
	ds_write2_b64 v145, v[10:11], v[8:9] offset1:153
	v_pk_fma_f32 v[8:9], v[16:17], v[4:5], v[58:59] op_sel:[0,0,1] op_sel_hi:[1,1,0]
	v_pk_fma_f32 v[4:5], v[16:17], v[4:5], v[58:59] op_sel:[0,0,1] op_sel_hi:[1,1,0] neg_lo:[0,0,1] neg_hi:[0,0,1]
	v_mov_b32_e32 v48, v28
	v_mov_b32_e32 v9, v5
	v_pk_add_f32 v[4:5], v[0:1], v[8:9] neg_lo:[0,1] neg_hi:[0,1]
	v_mov_b32_e32 v49, v28
	v_pk_fma_f32 v[0:1], v[0:1], 2.0, v[4:5] op_sel_hi:[1,0,1] neg_lo:[0,0,1] neg_hi:[0,0,1]
	ds_write2_b64 v52, v[0:1], v[4:5] offset0:101 offset1:254
	v_pk_fma_f32 v[0:1], v[50:51], v[6:7], v[62:63] op_sel:[0,0,1] op_sel_hi:[1,1,0]
	v_pk_fma_f32 v[4:5], v[50:51], v[6:7], v[62:63] op_sel:[0,0,1] op_sel_hi:[1,1,0] neg_lo:[0,0,1] neg_hi:[0,0,1]
	v_mov_b32_e32 v28, v29
	v_mov_b32_e32 v1, v5
	v_pk_add_f32 v[0:1], v[2:3], v[0:1] neg_lo:[0,1] neg_hi:[0,1]
	v_mov_b32_e32 v46, v30
	v_mov_b32_e32 v47, v30
	;; [unrolled: 1-line block ×15, first 2 shown]
	v_pk_fma_f32 v[2:3], v[2:3], 2.0, v[0:1] op_sel_hi:[1,0,1] neg_lo:[0,0,1] neg_hi:[0,0,1]
	v_add_u32_e32 v4, 0x1000, v193
	ds_write2_b64 v4, v[2:3], v[0:1] offset0:100 offset1:253
	s_and_saveexec_b64 s[0:1], s[2:3]
	s_cbranch_execz .LBB0_21
; %bb.20:
	v_pk_mul_f32 v[0:1], v[66:67], v[78:79] op_sel:[0,1]
	v_mov_b32_e32 v35, v37
	v_pk_fma_f32 v[2:3], v[66:67], v[78:79], v[0:1] op_sel:[0,0,1] op_sel_hi:[1,1,0]
	v_pk_fma_f32 v[0:1], v[66:67], v[78:79], v[0:1] op_sel:[0,0,1] op_sel_hi:[1,0,0] neg_lo:[1,0,0] neg_hi:[1,0,0]
	v_add_u32_e32 v4, 0x1000, v144
	v_mov_b32_e32 v3, v1
	v_pk_add_f32 v[0:1], v[34:35], v[2:3] neg_lo:[0,1] neg_hi:[0,1]
	s_nop 0
	v_pk_fma_f32 v[2:3], v[34:35], 2.0, v[0:1] op_sel_hi:[1,0,1] neg_lo:[0,0,1] neg_hi:[0,0,1]
	ds_write2_b64 v4, v[2:3], v[0:1] offset0:100 offset1:253
.LBB0_21:
	s_or_b64 exec, exec, s[0:1]
	v_add_u32_e32 v32, 0x400, v60
	s_waitcnt lgkmcnt(0)
	s_barrier
	ds_read2_b64 v[2:5], v32 offset0:76 offset1:178
	ds_read2_b64 v[6:9], v60 offset1:102
	v_add_u32_e32 v0, 0x1000, v60
	ds_read2_b64 v[10:13], v0 offset0:100 offset1:202
	v_add_u32_e32 v1, 0x800, v60
	s_waitcnt lgkmcnt(2)
	v_pk_mul_f32 v[14:15], v[28:29], v[4:5]
	s_mov_b32 s0, 0x3f5db3d7
	v_pk_fma_f32 v[18:19], v[48:49], v[4:5], v[14:15] op_sel:[0,0,1] op_sel_hi:[1,1,0]
	v_pk_fma_f32 v[4:5], v[48:49], v[4:5], v[14:15] op_sel:[0,0,1] op_sel_hi:[1,1,0] neg_lo:[0,0,1] neg_hi:[0,0,1]
	ds_read2_b64 v[14:17], v1 offset0:152 offset1:254
	v_mov_b32_e32 v19, v5
	s_waitcnt lgkmcnt(1)
	v_pk_mul_f32 v[4:5], v[30:31], v[10:11]
	s_movk_i32 s3, 0x1000
	v_pk_fma_f32 v[28:29], v[46:47], v[10:11], v[4:5] op_sel:[0,0,1] op_sel_hi:[1,1,0]
	v_pk_fma_f32 v[4:5], v[46:47], v[10:11], v[4:5] op_sel:[0,0,1] op_sel_hi:[1,1,0] neg_lo:[0,0,1] neg_hi:[0,0,1]
	s_waitcnt lgkmcnt(0)
	v_pk_mul_f32 v[10:11], v[24:25], v[14:15]
	v_pk_mul_f32 v[20:21], v[20:21], v[16:17]
	v_pk_fma_f32 v[24:25], v[44:45], v[14:15], v[10:11] op_sel:[0,0,1] op_sel_hi:[1,1,0]
	v_pk_fma_f32 v[10:11], v[44:45], v[14:15], v[10:11] op_sel:[0,0,1] op_sel_hi:[1,1,0] neg_lo:[0,0,1] neg_hi:[0,0,1]
	v_mov_b32_e32 v29, v5
	v_mov_b32_e32 v25, v11
	v_pk_mul_f32 v[10:11], v[26:27], v[12:13]
	v_pk_fma_f32 v[26:27], v[40:41], v[16:17], v[20:21] op_sel:[0,0,1] op_sel_hi:[1,1,0]
	v_pk_fma_f32 v[14:15], v[42:43], v[12:13], v[10:11] op_sel:[0,0,1] op_sel_hi:[1,1,0]
	v_pk_fma_f32 v[10:11], v[42:43], v[12:13], v[10:11] op_sel:[0,0,1] op_sel_hi:[1,1,0] neg_lo:[0,0,1] neg_hi:[0,0,1]
	ds_read_b64 v[12:13], v60 offset:6528
	v_pk_fma_f32 v[16:17], v[40:41], v[16:17], v[20:21] op_sel:[0,0,1] op_sel_hi:[1,1,0] neg_lo:[0,0,1] neg_hi:[0,0,1]
	v_pk_add_f32 v[4:5], v[6:7], v[18:19]
	v_mov_b32_e32 v27, v17
	v_mov_b32_e32 v15, v11
	s_waitcnt lgkmcnt(0)
	v_pk_mul_f32 v[16:17], v[22:23], v[12:13]
	v_pk_add_f32 v[10:11], v[8:9], v[24:25]
	v_pk_fma_f32 v[20:21], v[38:39], v[12:13], v[16:17] op_sel:[0,0,1] op_sel_hi:[1,1,0]
	v_pk_fma_f32 v[12:13], v[38:39], v[12:13], v[16:17] op_sel:[0,0,1] op_sel_hi:[1,1,0] neg_lo:[0,0,1] neg_hi:[0,0,1]
	v_pk_add_f32 v[16:17], v[18:19], v[28:29]
	v_pk_add_f32 v[4:5], v[4:5], v[28:29]
	v_pk_fma_f32 v[6:7], v[16:17], 0.5, v[6:7] op_sel_hi:[1,0,1] neg_lo:[1,0,0] neg_hi:[1,0,0]
	v_pk_add_f32 v[16:17], v[18:19], v[28:29] neg_lo:[0,1] neg_hi:[0,1]
	v_pk_add_f32 v[10:11], v[10:11], v[14:15]
	v_pk_mul_f32 v[16:17], v[16:17], s[0:1] op_sel_hi:[1,0]
	ds_write2_b64 v60, v[4:5], v[10:11] offset1:102
	v_pk_add_f32 v[18:19], v[6:7], v[16:17] op_sel:[0,1] op_sel_hi:[1,0] neg_lo:[0,1] neg_hi:[0,1]
	v_pk_add_f32 v[6:7], v[6:7], v[16:17] op_sel:[0,1] op_sel_hi:[1,0]
	v_mov_b32_e32 v17, v19
	v_mov_b32_e32 v16, v6
	;; [unrolled: 1-line block ×3, first 2 shown]
	v_pk_add_f32 v[4:5], v[24:25], v[14:15]
	v_pk_add_f32 v[6:7], v[24:25], v[14:15] neg_lo:[0,1] neg_hi:[0,1]
	v_pk_fma_f32 v[4:5], v[4:5], 0.5, v[8:9] op_sel_hi:[1,0,1] neg_lo:[1,0,0] neg_hi:[1,0,0]
	v_pk_mul_f32 v[6:7], v[6:7], s[0:1] op_sel_hi:[1,0]
	v_mov_b32_e32 v21, v13
	v_pk_add_f32 v[8:9], v[4:5], v[6:7] op_sel:[0,1] op_sel_hi:[1,0] neg_lo:[0,1] neg_hi:[0,1]
	v_pk_add_f32 v[4:5], v[4:5], v[6:7] op_sel:[0,1] op_sel_hi:[1,0]
	v_mov_b32_e32 v7, v9
	v_mov_b32_e32 v6, v4
	;; [unrolled: 1-line block ×3, first 2 shown]
	v_pk_add_f32 v[4:5], v[26:27], v[20:21]
	v_pk_add_f32 v[12:13], v[2:3], v[26:27]
	v_pk_fma_f32 v[2:3], v[4:5], 0.5, v[2:3] op_sel_hi:[1,0,1] neg_lo:[1,0,0] neg_hi:[1,0,0]
	v_pk_add_f32 v[4:5], v[26:27], v[20:21] neg_lo:[0,1] neg_hi:[0,1]
	ds_write2_b64 v0, v[16:17], v[6:7] offset0:100 offset1:202
	v_pk_mul_f32 v[4:5], v[4:5], s[0:1] op_sel_hi:[1,0]
	v_pk_add_f32 v[12:13], v[12:13], v[20:21]
	v_pk_add_f32 v[6:7], v[2:3], v[4:5] op_sel:[0,1] op_sel_hi:[1,0] neg_lo:[0,1] neg_hi:[0,1]
	v_pk_add_f32 v[2:3], v[2:3], v[4:5] op_sel:[0,1] op_sel_hi:[1,0]
	v_mov_b32_e32 v4, v6
	v_mov_b32_e32 v5, v3
	;; [unrolled: 1-line block ×3, first 2 shown]
	ds_write2_b64 v32, v[12:13], v[18:19] offset0:76 offset1:178
	ds_write2_b64 v1, v[8:9], v[4:5] offset0:152 offset1:254
	ds_write_b64 v60, v[2:3] offset:6528
	s_waitcnt lgkmcnt(0)
	s_barrier
	s_and_b64 exec, exec, s[4:5]
	s_cbranch_execz .LBB0_23
; %bb.22:
	global_load_dwordx2 v[2:3], v60, s[12:13]
	ds_read_b64 v[4:5], v60
	v_accvgpr_read_b32 v16, a2
	v_mad_u64_u32 v[8:9], s[0:1], s10, v16, 0
	v_mov_b32_e32 v12, v9
	v_mad_u64_u32 v[12:13], s[4:5], s11, v16, v[12:13]
	v_mov_b32_e32 v6, s14
	v_mov_b32_e32 v7, s15
	;; [unrolled: 1-line block ×3, first 2 shown]
	v_mad_u64_u32 v[10:11], s[4:5], s8, v208, 0
	v_lshl_add_u64 v[6:7], v[8:9], 3, v[6:7]
	s_mov_b32 s0, 0x672e4abd
	v_mov_b32_e32 v14, v11
	s_mov_b32 s1, 0x3f51d8f5
	v_mad_u64_u32 v[14:15], s[4:5], s9, v208, v[14:15]
	v_mov_b32_e32 v11, v14
	v_lshl_add_u64 v[6:7], v[10:11], 3, v[6:7]
	v_mov_b32_e32 v12, 0x1b0
	s_mul_i32 s2, s9, 0x1b0
	v_mov_b32_e32 v61, 0
	s_waitcnt vmcnt(0) lgkmcnt(0)
	v_mul_f32_e32 v8, v5, v3
	v_mul_f32_e32 v3, v4, v3
	v_fmac_f32_e32 v8, v4, v2
	v_fma_f32 v4, v2, v5, -v3
	v_cvt_f64_f32_e32 v[2:3], v8
	v_cvt_f64_f32_e32 v[4:5], v4
	v_mul_f64 v[2:3], v[2:3], s[0:1]
	v_mul_f64 v[4:5], v[4:5], s[0:1]
	v_cvt_f32_f64_e32 v2, v[2:3]
	v_cvt_f32_f64_e32 v3, v[4:5]
	global_store_dwordx2 v[6:7], v[2:3], off
	global_load_dwordx2 v[8:9], v60, s[12:13] offset:432
	ds_read2_b64 v[2:5], v60 offset0:54 offset1:108
	v_mad_u64_u32 v[6:7], s[4:5], s8, v12, v[6:7]
	v_add_u32_e32 v7, s2, v7
	s_waitcnt vmcnt(0) lgkmcnt(0)
	v_mul_f32_e32 v10, v3, v9
	v_mul_f32_e32 v9, v2, v9
	v_fmac_f32_e32 v10, v2, v8
	v_fma_f32 v8, v8, v3, -v9
	v_cvt_f64_f32_e32 v[2:3], v10
	v_cvt_f64_f32_e32 v[8:9], v8
	v_mul_f64 v[2:3], v[2:3], s[0:1]
	v_mul_f64 v[8:9], v[8:9], s[0:1]
	v_cvt_f32_f64_e32 v2, v[2:3]
	v_cvt_f32_f64_e32 v3, v[8:9]
	global_store_dwordx2 v[6:7], v[2:3], off
	global_load_dwordx2 v[2:3], v60, s[12:13] offset:864
	v_mad_u64_u32 v[6:7], s[4:5], s8, v12, v[6:7]
	v_add_u32_e32 v7, s2, v7
	s_waitcnt vmcnt(0)
	v_mul_f32_e32 v8, v5, v3
	v_mul_f32_e32 v3, v4, v3
	v_fmac_f32_e32 v8, v4, v2
	v_fma_f32 v4, v2, v5, -v3
	v_cvt_f64_f32_e32 v[2:3], v8
	v_cvt_f64_f32_e32 v[4:5], v4
	v_mul_f64 v[2:3], v[2:3], s[0:1]
	v_mul_f64 v[4:5], v[4:5], s[0:1]
	v_cvt_f32_f64_e32 v2, v[2:3]
	v_cvt_f32_f64_e32 v3, v[4:5]
	global_store_dwordx2 v[6:7], v[2:3], off
	global_load_dwordx2 v[8:9], v60, s[12:13] offset:1296
	ds_read2_b64 v[2:5], v60 offset0:162 offset1:216
	v_mad_u64_u32 v[6:7], s[4:5], s8, v12, v[6:7]
	v_add_u32_e32 v7, s2, v7
	s_waitcnt vmcnt(0) lgkmcnt(0)
	v_mul_f32_e32 v10, v3, v9
	v_mul_f32_e32 v9, v2, v9
	v_fmac_f32_e32 v10, v2, v8
	v_fma_f32 v8, v8, v3, -v9
	v_cvt_f64_f32_e32 v[2:3], v10
	v_cvt_f64_f32_e32 v[8:9], v8
	v_mul_f64 v[2:3], v[2:3], s[0:1]
	v_mul_f64 v[8:9], v[8:9], s[0:1]
	v_cvt_f32_f64_e32 v2, v[2:3]
	v_cvt_f32_f64_e32 v3, v[8:9]
	global_store_dwordx2 v[6:7], v[2:3], off
	global_load_dwordx2 v[2:3], v60, s[12:13] offset:1728
	v_mad_u64_u32 v[6:7], s[4:5], s8, v12, v[6:7]
	v_add_u32_e32 v7, s2, v7
	s_waitcnt vmcnt(0)
	v_mul_f32_e32 v8, v5, v3
	v_mul_f32_e32 v3, v4, v3
	v_fmac_f32_e32 v8, v4, v2
	v_fma_f32 v4, v2, v5, -v3
	v_cvt_f64_f32_e32 v[2:3], v8
	v_cvt_f64_f32_e32 v[4:5], v4
	v_mul_f64 v[2:3], v[2:3], s[0:1]
	v_mul_f64 v[4:5], v[4:5], s[0:1]
	v_cvt_f32_f64_e32 v2, v[2:3]
	v_cvt_f32_f64_e32 v3, v[4:5]
	global_store_dwordx2 v[6:7], v[2:3], off
	global_load_dwordx2 v[8:9], v60, s[12:13] offset:2160
	ds_read2_b64 v[2:5], v1 offset0:14 offset1:68
	v_mad_u64_u32 v[6:7], s[4:5], s8, v12, v[6:7]
	v_add_u32_e32 v7, s2, v7
	s_waitcnt vmcnt(0) lgkmcnt(0)
	v_mul_f32_e32 v10, v3, v9
	v_mul_f32_e32 v9, v2, v9
	v_fmac_f32_e32 v10, v2, v8
	v_fma_f32 v8, v8, v3, -v9
	v_cvt_f64_f32_e32 v[2:3], v10
	v_cvt_f64_f32_e32 v[8:9], v8
	v_mul_f64 v[2:3], v[2:3], s[0:1]
	v_mul_f64 v[8:9], v[8:9], s[0:1]
	v_cvt_f32_f64_e32 v2, v[2:3]
	v_cvt_f32_f64_e32 v3, v[8:9]
	global_store_dwordx2 v[6:7], v[2:3], off
	global_load_dwordx2 v[2:3], v60, s[12:13] offset:2592
	v_mad_u64_u32 v[6:7], s[4:5], s8, v12, v[6:7]
	v_add_u32_e32 v7, s2, v7
	v_lshl_add_u64 v[10:11], s[12:13], 0, v[60:61]
	v_add_co_u32_e32 v10, vcc, s3, v10
	s_waitcnt vmcnt(0)
	v_mul_f32_e32 v8, v5, v3
	v_mul_f32_e32 v3, v4, v3
	v_fmac_f32_e32 v8, v4, v2
	v_fma_f32 v4, v2, v5, -v3
	v_cvt_f64_f32_e32 v[2:3], v8
	v_cvt_f64_f32_e32 v[4:5], v4
	v_mul_f64 v[2:3], v[2:3], s[0:1]
	v_mul_f64 v[4:5], v[4:5], s[0:1]
	v_cvt_f32_f64_e32 v2, v[2:3]
	v_cvt_f32_f64_e32 v3, v[4:5]
	global_store_dwordx2 v[6:7], v[2:3], off
	global_load_dwordx2 v[8:9], v60, s[12:13] offset:3024
	ds_read2_b64 v[2:5], v1 offset0:122 offset1:176
	v_mad_u64_u32 v[6:7], s[4:5], s8, v12, v[6:7]
	v_add_u32_e32 v7, s2, v7
	v_addc_co_u32_e32 v11, vcc, 0, v11, vcc
	s_waitcnt vmcnt(0) lgkmcnt(0)
	v_mul_f32_e32 v1, v3, v9
	v_mul_f32_e32 v9, v2, v9
	v_fmac_f32_e32 v1, v2, v8
	v_fma_f32 v8, v8, v3, -v9
	v_cvt_f64_f32_e32 v[2:3], v1
	v_cvt_f64_f32_e32 v[8:9], v8
	v_mul_f64 v[2:3], v[2:3], s[0:1]
	v_mul_f64 v[8:9], v[8:9], s[0:1]
	v_cvt_f32_f64_e32 v2, v[2:3]
	v_cvt_f32_f64_e32 v3, v[8:9]
	global_store_dwordx2 v[6:7], v[2:3], off
	global_load_dwordx2 v[2:3], v60, s[12:13] offset:3456
	v_mad_u64_u32 v[6:7], s[4:5], s8, v12, v[6:7]
	v_add_u32_e32 v7, s2, v7
	s_waitcnt vmcnt(0)
	v_mul_f32_e32 v1, v5, v3
	v_mul_f32_e32 v3, v4, v3
	v_fmac_f32_e32 v1, v4, v2
	v_fma_f32 v4, v2, v5, -v3
	v_cvt_f64_f32_e32 v[2:3], v1
	v_cvt_f64_f32_e32 v[4:5], v4
	v_mul_f64 v[2:3], v[2:3], s[0:1]
	v_mul_f64 v[4:5], v[4:5], s[0:1]
	v_cvt_f32_f64_e32 v2, v[2:3]
	v_cvt_f32_f64_e32 v3, v[4:5]
	global_store_dwordx2 v[6:7], v[2:3], off
	global_load_dwordx2 v[8:9], v60, s[12:13] offset:3888
	v_add_u32_e32 v1, 0xc00, v60
	ds_read2_b64 v[2:5], v1 offset0:102 offset1:156
	v_mad_u64_u32 v[6:7], s[4:5], s8, v12, v[6:7]
	v_add_u32_e32 v7, s2, v7
	s_waitcnt vmcnt(0) lgkmcnt(0)
	v_mul_f32_e32 v1, v3, v9
	v_mul_f32_e32 v9, v2, v9
	v_fmac_f32_e32 v1, v2, v8
	v_fma_f32 v8, v8, v3, -v9
	v_cvt_f64_f32_e32 v[2:3], v1
	v_cvt_f64_f32_e32 v[8:9], v8
	v_mul_f64 v[2:3], v[2:3], s[0:1]
	v_mul_f64 v[8:9], v[8:9], s[0:1]
	v_cvt_f32_f64_e32 v2, v[2:3]
	v_cvt_f32_f64_e32 v3, v[8:9]
	global_store_dwordx2 v[6:7], v[2:3], off
	global_load_dwordx2 v[2:3], v[10:11], off offset:224
	v_mad_u64_u32 v[6:7], s[4:5], s8, v12, v[6:7]
	v_add_u32_e32 v7, s2, v7
	s_waitcnt vmcnt(0)
	v_mul_f32_e32 v1, v5, v3
	v_mul_f32_e32 v3, v4, v3
	v_fmac_f32_e32 v1, v4, v2
	v_fma_f32 v4, v2, v5, -v3
	v_cvt_f64_f32_e32 v[2:3], v1
	v_cvt_f64_f32_e32 v[4:5], v4
	v_mul_f64 v[2:3], v[2:3], s[0:1]
	v_mul_f64 v[4:5], v[4:5], s[0:1]
	v_cvt_f32_f64_e32 v2, v[2:3]
	v_cvt_f32_f64_e32 v3, v[4:5]
	global_store_dwordx2 v[6:7], v[2:3], off
	global_load_dwordx2 v[8:9], v[10:11], off offset:656
	ds_read2_b64 v[2:5], v0 offset0:82 offset1:136
	v_mad_u64_u32 v[6:7], s[4:5], s8, v12, v[6:7]
	v_add_u32_e32 v7, s2, v7
	s_waitcnt vmcnt(0) lgkmcnt(0)
	v_mul_f32_e32 v1, v3, v9
	v_mul_f32_e32 v9, v2, v9
	v_fmac_f32_e32 v1, v2, v8
	v_fma_f32 v8, v8, v3, -v9
	v_cvt_f64_f32_e32 v[2:3], v1
	v_cvt_f64_f32_e32 v[8:9], v8
	v_mul_f64 v[2:3], v[2:3], s[0:1]
	v_mul_f64 v[8:9], v[8:9], s[0:1]
	v_cvt_f32_f64_e32 v2, v[2:3]
	v_cvt_f32_f64_e32 v3, v[8:9]
	global_store_dwordx2 v[6:7], v[2:3], off
	global_load_dwordx2 v[2:3], v[10:11], off offset:1088
	v_mad_u64_u32 v[6:7], s[4:5], s8, v12, v[6:7]
	v_add_u32_e32 v7, s2, v7
	s_waitcnt vmcnt(0)
	v_mul_f32_e32 v1, v5, v3
	v_mul_f32_e32 v3, v4, v3
	v_fmac_f32_e32 v1, v4, v2
	v_fma_f32 v4, v2, v5, -v3
	v_cvt_f64_f32_e32 v[2:3], v1
	v_cvt_f64_f32_e32 v[4:5], v4
	v_mul_f64 v[2:3], v[2:3], s[0:1]
	v_mul_f64 v[4:5], v[4:5], s[0:1]
	v_cvt_f32_f64_e32 v2, v[2:3]
	v_cvt_f32_f64_e32 v3, v[4:5]
	global_store_dwordx2 v[6:7], v[2:3], off
	global_load_dwordx2 v[4:5], v[10:11], off offset:1520
	ds_read2_b64 v[0:3], v0 offset0:190 offset1:244
	v_mad_u64_u32 v[6:7], s[4:5], s8, v12, v[6:7]
	v_add_u32_e32 v7, s2, v7
	s_waitcnt vmcnt(0) lgkmcnt(0)
	v_mul_f32_e32 v8, v1, v5
	v_mul_f32_e32 v5, v0, v5
	v_fmac_f32_e32 v8, v0, v4
	v_fma_f32 v4, v4, v1, -v5
	v_cvt_f64_f32_e32 v[0:1], v8
	v_cvt_f64_f32_e32 v[4:5], v4
	v_mul_f64 v[0:1], v[0:1], s[0:1]
	v_mul_f64 v[4:5], v[4:5], s[0:1]
	v_cvt_f32_f64_e32 v0, v[0:1]
	v_cvt_f32_f64_e32 v1, v[4:5]
	global_store_dwordx2 v[6:7], v[0:1], off
	global_load_dwordx2 v[0:1], v[10:11], off offset:1952
	v_mad_u64_u32 v[4:5], s[4:5], s8, v12, v[6:7]
	v_add_u32_e32 v5, s2, v5
	s_waitcnt vmcnt(0)
	v_mul_f32_e32 v6, v3, v1
	v_mul_f32_e32 v1, v2, v1
	v_fmac_f32_e32 v6, v2, v0
	v_fma_f32 v2, v0, v3, -v1
	v_cvt_f64_f32_e32 v[0:1], v6
	v_cvt_f64_f32_e32 v[2:3], v2
	v_mul_f64 v[0:1], v[0:1], s[0:1]
	v_mul_f64 v[2:3], v[2:3], s[0:1]
	v_cvt_f32_f64_e32 v0, v[0:1]
	v_cvt_f32_f64_e32 v1, v[2:3]
	global_store_dwordx2 v[4:5], v[0:1], off
	global_load_dwordx2 v[6:7], v[10:11], off offset:2384
	v_add_u32_e32 v0, 0x1800, v60
	ds_read2_b64 v[0:3], v0 offset0:42 offset1:96
	v_mad_u64_u32 v[4:5], s[4:5], s8, v12, v[4:5]
	v_add_u32_e32 v5, s2, v5
	s_waitcnt vmcnt(0) lgkmcnt(0)
	v_mul_f32_e32 v8, v1, v7
	v_mul_f32_e32 v7, v0, v7
	v_fmac_f32_e32 v8, v0, v6
	v_fma_f32 v6, v6, v1, -v7
	v_cvt_f64_f32_e32 v[0:1], v8
	v_cvt_f64_f32_e32 v[6:7], v6
	v_mul_f64 v[0:1], v[0:1], s[0:1]
	v_mul_f64 v[6:7], v[6:7], s[0:1]
	v_cvt_f32_f64_e32 v0, v[0:1]
	v_cvt_f32_f64_e32 v1, v[6:7]
	global_store_dwordx2 v[4:5], v[0:1], off
	global_load_dwordx2 v[0:1], v[10:11], off offset:2816
	v_mad_u64_u32 v[4:5], s[4:5], s8, v12, v[4:5]
	v_add_u32_e32 v5, s2, v5
	s_waitcnt vmcnt(0)
	v_mul_f32_e32 v6, v3, v1
	v_mul_f32_e32 v1, v2, v1
	v_fmac_f32_e32 v6, v2, v0
	v_fma_f32 v2, v0, v3, -v1
	v_cvt_f64_f32_e32 v[0:1], v6
	v_cvt_f64_f32_e32 v[2:3], v2
	v_mul_f64 v[0:1], v[0:1], s[0:1]
	v_mul_f64 v[2:3], v[2:3], s[0:1]
	v_cvt_f32_f64_e32 v0, v[0:1]
	v_cvt_f32_f64_e32 v1, v[2:3]
	global_store_dwordx2 v[4:5], v[0:1], off
.LBB0_23:
	s_endpgm
	.section	.rodata,"a",@progbits
	.p2align	6, 0x0
	.amdhsa_kernel bluestein_single_fwd_len918_dim1_sp_op_CI_CI
		.amdhsa_group_segment_fixed_size 7344
		.amdhsa_private_segment_fixed_size 0
		.amdhsa_kernarg_size 104
		.amdhsa_user_sgpr_count 2
		.amdhsa_user_sgpr_dispatch_ptr 0
		.amdhsa_user_sgpr_queue_ptr 0
		.amdhsa_user_sgpr_kernarg_segment_ptr 1
		.amdhsa_user_sgpr_dispatch_id 0
		.amdhsa_user_sgpr_kernarg_preload_length 0
		.amdhsa_user_sgpr_kernarg_preload_offset 0
		.amdhsa_user_sgpr_private_segment_size 0
		.amdhsa_uses_dynamic_stack 0
		.amdhsa_enable_private_segment 0
		.amdhsa_system_sgpr_workgroup_id_x 1
		.amdhsa_system_sgpr_workgroup_id_y 0
		.amdhsa_system_sgpr_workgroup_id_z 0
		.amdhsa_system_sgpr_workgroup_info 0
		.amdhsa_system_vgpr_workitem_id 0
		.amdhsa_next_free_vgpr 322
		.amdhsa_next_free_sgpr 78
		.amdhsa_accum_offset 256
		.amdhsa_reserve_vcc 1
		.amdhsa_float_round_mode_32 0
		.amdhsa_float_round_mode_16_64 0
		.amdhsa_float_denorm_mode_32 3
		.amdhsa_float_denorm_mode_16_64 3
		.amdhsa_dx10_clamp 1
		.amdhsa_ieee_mode 1
		.amdhsa_fp16_overflow 0
		.amdhsa_tg_split 0
		.amdhsa_exception_fp_ieee_invalid_op 0
		.amdhsa_exception_fp_denorm_src 0
		.amdhsa_exception_fp_ieee_div_zero 0
		.amdhsa_exception_fp_ieee_overflow 0
		.amdhsa_exception_fp_ieee_underflow 0
		.amdhsa_exception_fp_ieee_inexact 0
		.amdhsa_exception_int_div_zero 0
	.end_amdhsa_kernel
	.text
.Lfunc_end0:
	.size	bluestein_single_fwd_len918_dim1_sp_op_CI_CI, .Lfunc_end0-bluestein_single_fwd_len918_dim1_sp_op_CI_CI
                                        ; -- End function
	.section	.AMDGPU.csdata,"",@progbits
; Kernel info:
; codeLenInByte = 17764
; NumSgprs: 84
; NumVgprs: 256
; NumAgprs: 66
; TotalNumVgprs: 322
; ScratchSize: 0
; MemoryBound: 0
; FloatMode: 240
; IeeeMode: 1
; LDSByteSize: 7344 bytes/workgroup (compile time only)
; SGPRBlocks: 10
; VGPRBlocks: 40
; NumSGPRsForWavesPerEU: 84
; NumVGPRsForWavesPerEU: 322
; AccumOffset: 256
; Occupancy: 1
; WaveLimiterHint : 1
; COMPUTE_PGM_RSRC2:SCRATCH_EN: 0
; COMPUTE_PGM_RSRC2:USER_SGPR: 2
; COMPUTE_PGM_RSRC2:TRAP_HANDLER: 0
; COMPUTE_PGM_RSRC2:TGID_X_EN: 1
; COMPUTE_PGM_RSRC2:TGID_Y_EN: 0
; COMPUTE_PGM_RSRC2:TGID_Z_EN: 0
; COMPUTE_PGM_RSRC2:TIDIG_COMP_CNT: 0
; COMPUTE_PGM_RSRC3_GFX90A:ACCUM_OFFSET: 63
; COMPUTE_PGM_RSRC3_GFX90A:TG_SPLIT: 0
	.text
	.p2alignl 6, 3212836864
	.fill 256, 4, 3212836864
	.type	__hip_cuid_6250e37bcbf73e0b,@object ; @__hip_cuid_6250e37bcbf73e0b
	.section	.bss,"aw",@nobits
	.globl	__hip_cuid_6250e37bcbf73e0b
__hip_cuid_6250e37bcbf73e0b:
	.byte	0                               ; 0x0
	.size	__hip_cuid_6250e37bcbf73e0b, 1

	.ident	"AMD clang version 19.0.0git (https://github.com/RadeonOpenCompute/llvm-project roc-6.4.0 25133 c7fe45cf4b819c5991fe208aaa96edf142730f1d)"
	.section	".note.GNU-stack","",@progbits
	.addrsig
	.addrsig_sym __hip_cuid_6250e37bcbf73e0b
	.amdgpu_metadata
---
amdhsa.kernels:
  - .agpr_count:     66
    .args:
      - .actual_access:  read_only
        .address_space:  global
        .offset:         0
        .size:           8
        .value_kind:     global_buffer
      - .actual_access:  read_only
        .address_space:  global
        .offset:         8
        .size:           8
        .value_kind:     global_buffer
      - .actual_access:  read_only
        .address_space:  global
        .offset:         16
        .size:           8
        .value_kind:     global_buffer
      - .actual_access:  read_only
        .address_space:  global
        .offset:         24
        .size:           8
        .value_kind:     global_buffer
      - .actual_access:  read_only
        .address_space:  global
        .offset:         32
        .size:           8
        .value_kind:     global_buffer
      - .offset:         40
        .size:           8
        .value_kind:     by_value
      - .address_space:  global
        .offset:         48
        .size:           8
        .value_kind:     global_buffer
      - .address_space:  global
        .offset:         56
        .size:           8
        .value_kind:     global_buffer
      - .address_space:  global
        .offset:         64
        .size:           8
        .value_kind:     global_buffer
      - .address_space:  global
        .offset:         72
        .size:           8
        .value_kind:     global_buffer
      - .offset:         80
        .size:           4
        .value_kind:     by_value
      - .address_space:  global
        .offset:         88
        .size:           8
        .value_kind:     global_buffer
      - .address_space:  global
        .offset:         96
        .size:           8
        .value_kind:     global_buffer
    .group_segment_fixed_size: 7344
    .kernarg_segment_align: 8
    .kernarg_segment_size: 104
    .language:       OpenCL C
    .language_version:
      - 2
      - 0
    .max_flat_workgroup_size: 102
    .name:           bluestein_single_fwd_len918_dim1_sp_op_CI_CI
    .private_segment_fixed_size: 0
    .sgpr_count:     84
    .sgpr_spill_count: 0
    .symbol:         bluestein_single_fwd_len918_dim1_sp_op_CI_CI.kd
    .uniform_work_group_size: 1
    .uses_dynamic_stack: false
    .vgpr_count:     322
    .vgpr_spill_count: 0
    .wavefront_size: 64
amdhsa.target:   amdgcn-amd-amdhsa--gfx950
amdhsa.version:
  - 1
  - 2
...

	.end_amdgpu_metadata
